;; amdgpu-corpus repo=ROCm/rocFFT kind=compiled arch=gfx950 opt=O3
	.text
	.amdgcn_target "amdgcn-amd-amdhsa--gfx950"
	.amdhsa_code_object_version 6
	.protected	fft_rtc_back_len320_factors_10_4_4_2_wgs_64_tpt_16_halfLds_sp_ip_CI_sbrr_dirReg ; -- Begin function fft_rtc_back_len320_factors_10_4_4_2_wgs_64_tpt_16_halfLds_sp_ip_CI_sbrr_dirReg
	.globl	fft_rtc_back_len320_factors_10_4_4_2_wgs_64_tpt_16_halfLds_sp_ip_CI_sbrr_dirReg
	.p2align	8
	.type	fft_rtc_back_len320_factors_10_4_4_2_wgs_64_tpt_16_halfLds_sp_ip_CI_sbrr_dirReg,@function
fft_rtc_back_len320_factors_10_4_4_2_wgs_64_tpt_16_halfLds_sp_ip_CI_sbrr_dirReg: ; @fft_rtc_back_len320_factors_10_4_4_2_wgs_64_tpt_16_halfLds_sp_ip_CI_sbrr_dirReg
; %bb.0:
	s_load_dwordx2 s[12:13], s[0:1], 0x18
	s_load_dwordx4 s[4:7], s[0:1], 0x0
	s_load_dwordx2 s[10:11], s[0:1], 0x50
	v_lshrrev_b32_e32 v15, 4, v0
	v_lshl_or_b32 v6, s2, 2, v15
	s_waitcnt lgkmcnt(0)
	s_load_dwordx2 s[8:9], s[12:13], 0x0
	v_mov_b32_e32 v4, 0
	v_cmp_lt_u64_e64 s[2:3], s[6:7], 2
	v_mov_b32_e32 v7, v4
	s_and_b64 vcc, exec, s[2:3]
	v_mov_b64_e32 v[2:3], 0
	s_cbranch_vccnz .LBB0_8
; %bb.1:
	s_load_dwordx2 s[2:3], s[0:1], 0x10
	s_add_u32 s14, s12, 8
	s_addc_u32 s15, s13, 0
	s_mov_b64 s[16:17], 1
	v_mov_b64_e32 v[2:3], 0
	s_waitcnt lgkmcnt(0)
	s_add_u32 s18, s2, 8
	s_addc_u32 s19, s3, 0
.LBB0_2:                                ; =>This Inner Loop Header: Depth=1
	s_load_dwordx2 s[20:21], s[18:19], 0x0
                                        ; implicit-def: $vgpr8_vgpr9
	s_waitcnt lgkmcnt(0)
	v_or_b32_e32 v5, s21, v7
	v_cmp_ne_u64_e32 vcc, 0, v[4:5]
	s_and_saveexec_b64 s[2:3], vcc
	s_xor_b64 s[22:23], exec, s[2:3]
	s_cbranch_execz .LBB0_4
; %bb.3:                                ;   in Loop: Header=BB0_2 Depth=1
	v_cvt_f32_u32_e32 v1, s20
	v_cvt_f32_u32_e32 v5, s21
	s_sub_u32 s2, 0, s20
	s_subb_u32 s3, 0, s21
	v_fmac_f32_e32 v1, 0x4f800000, v5
	v_rcp_f32_e32 v1, v1
	s_nop 0
	v_mul_f32_e32 v1, 0x5f7ffffc, v1
	v_mul_f32_e32 v5, 0x2f800000, v1
	v_trunc_f32_e32 v5, v5
	v_fmac_f32_e32 v1, 0xcf800000, v5
	v_cvt_u32_f32_e32 v5, v5
	v_cvt_u32_f32_e32 v1, v1
	v_mul_lo_u32 v8, s2, v5
	v_mul_hi_u32 v10, s2, v1
	v_mul_lo_u32 v9, s3, v1
	v_add_u32_e32 v10, v10, v8
	v_mul_lo_u32 v12, s2, v1
	v_add_u32_e32 v13, v10, v9
	v_mul_hi_u32 v8, v1, v12
	v_mul_hi_u32 v11, v1, v13
	v_mul_lo_u32 v10, v1, v13
	v_mov_b32_e32 v9, v4
	v_lshl_add_u64 v[8:9], v[8:9], 0, v[10:11]
	v_mul_hi_u32 v11, v5, v12
	v_mul_lo_u32 v12, v5, v12
	v_add_co_u32_e32 v8, vcc, v8, v12
	v_mul_hi_u32 v10, v5, v13
	s_nop 0
	v_addc_co_u32_e32 v8, vcc, v9, v11, vcc
	v_mov_b32_e32 v9, v4
	s_nop 0
	v_addc_co_u32_e32 v11, vcc, 0, v10, vcc
	v_mul_lo_u32 v10, v5, v13
	v_lshl_add_u64 v[8:9], v[8:9], 0, v[10:11]
	v_add_co_u32_e32 v1, vcc, v1, v8
	v_mul_lo_u32 v10, s2, v1
	s_nop 0
	v_addc_co_u32_e32 v5, vcc, v5, v9, vcc
	v_mul_lo_u32 v8, s2, v5
	v_mul_hi_u32 v9, s2, v1
	v_add_u32_e32 v8, v9, v8
	v_mul_lo_u32 v9, s3, v1
	v_add_u32_e32 v12, v8, v9
	v_mul_hi_u32 v14, v5, v10
	v_mul_lo_u32 v16, v5, v10
	v_mul_hi_u32 v9, v1, v12
	v_mul_lo_u32 v8, v1, v12
	v_mul_hi_u32 v10, v1, v10
	v_mov_b32_e32 v11, v4
	v_lshl_add_u64 v[8:9], v[10:11], 0, v[8:9]
	v_add_co_u32_e32 v8, vcc, v8, v16
	v_mul_hi_u32 v13, v5, v12
	s_nop 0
	v_addc_co_u32_e32 v8, vcc, v9, v14, vcc
	v_mul_lo_u32 v10, v5, v12
	s_nop 0
	v_addc_co_u32_e32 v11, vcc, 0, v13, vcc
	v_mov_b32_e32 v9, v4
	v_lshl_add_u64 v[8:9], v[8:9], 0, v[10:11]
	v_add_co_u32_e32 v1, vcc, v1, v8
	v_mul_hi_u32 v10, v6, v1
	s_nop 0
	v_addc_co_u32_e32 v5, vcc, v5, v9, vcc
	v_mad_u64_u32 v[8:9], s[2:3], v6, v5, 0
	v_mov_b32_e32 v11, v4
	v_lshl_add_u64 v[8:9], v[10:11], 0, v[8:9]
	v_mad_u64_u32 v[12:13], s[2:3], v7, v1, 0
	v_add_co_u32_e32 v1, vcc, v8, v12
	v_mad_u64_u32 v[10:11], s[2:3], v7, v5, 0
	s_nop 0
	v_addc_co_u32_e32 v8, vcc, v9, v13, vcc
	v_mov_b32_e32 v9, v4
	s_nop 0
	v_addc_co_u32_e32 v11, vcc, 0, v11, vcc
	v_lshl_add_u64 v[8:9], v[8:9], 0, v[10:11]
	v_mul_lo_u32 v1, s21, v8
	v_mul_lo_u32 v5, s20, v9
	v_mad_u64_u32 v[10:11], s[2:3], s20, v8, 0
	v_add3_u32 v1, v11, v5, v1
	v_sub_u32_e32 v5, v7, v1
	v_mov_b32_e32 v11, s21
	v_sub_co_u32_e32 v14, vcc, v6, v10
	v_lshl_add_u64 v[12:13], v[8:9], 0, 1
	s_nop 0
	v_subb_co_u32_e64 v5, s[2:3], v5, v11, vcc
	v_subrev_co_u32_e64 v10, s[2:3], s20, v14
	v_subb_co_u32_e32 v1, vcc, v7, v1, vcc
	s_nop 0
	v_subbrev_co_u32_e64 v5, s[2:3], 0, v5, s[2:3]
	v_cmp_le_u32_e64 s[2:3], s21, v5
	v_cmp_le_u32_e32 vcc, s21, v1
	s_nop 0
	v_cndmask_b32_e64 v11, 0, -1, s[2:3]
	v_cmp_le_u32_e64 s[2:3], s20, v10
	s_nop 1
	v_cndmask_b32_e64 v10, 0, -1, s[2:3]
	v_cmp_eq_u32_e64 s[2:3], s21, v5
	s_nop 1
	v_cndmask_b32_e64 v5, v11, v10, s[2:3]
	v_lshl_add_u64 v[10:11], v[8:9], 0, 2
	v_cmp_ne_u32_e64 s[2:3], 0, v5
	s_nop 1
	v_cndmask_b32_e64 v5, v13, v11, s[2:3]
	v_cndmask_b32_e64 v11, 0, -1, vcc
	v_cmp_le_u32_e32 vcc, s20, v14
	s_nop 1
	v_cndmask_b32_e64 v13, 0, -1, vcc
	v_cmp_eq_u32_e32 vcc, s21, v1
	s_nop 1
	v_cndmask_b32_e32 v1, v11, v13, vcc
	v_cmp_ne_u32_e32 vcc, 0, v1
	v_cndmask_b32_e64 v1, v12, v10, s[2:3]
	s_nop 0
	v_cndmask_b32_e32 v9, v9, v5, vcc
	v_cndmask_b32_e32 v8, v8, v1, vcc
.LBB0_4:                                ;   in Loop: Header=BB0_2 Depth=1
	s_andn2_saveexec_b64 s[2:3], s[22:23]
	s_cbranch_execz .LBB0_6
; %bb.5:                                ;   in Loop: Header=BB0_2 Depth=1
	v_cvt_f32_u32_e32 v1, s20
	s_sub_i32 s22, 0, s20
	v_rcp_iflag_f32_e32 v1, v1
	s_nop 0
	v_mul_f32_e32 v1, 0x4f7ffffe, v1
	v_cvt_u32_f32_e32 v1, v1
	v_mul_lo_u32 v5, s22, v1
	v_mul_hi_u32 v5, v1, v5
	v_add_u32_e32 v1, v1, v5
	v_mul_hi_u32 v1, v6, v1
	v_mul_lo_u32 v5, v1, s20
	v_sub_u32_e32 v5, v6, v5
	v_add_u32_e32 v8, 1, v1
	v_subrev_u32_e32 v9, s20, v5
	v_cmp_le_u32_e32 vcc, s20, v5
	s_nop 1
	v_cndmask_b32_e32 v5, v5, v9, vcc
	v_cndmask_b32_e32 v1, v1, v8, vcc
	v_add_u32_e32 v8, 1, v1
	v_cmp_le_u32_e32 vcc, s20, v5
	v_mov_b32_e32 v9, v4
	s_nop 0
	v_cndmask_b32_e32 v8, v1, v8, vcc
.LBB0_6:                                ;   in Loop: Header=BB0_2 Depth=1
	s_or_b64 exec, exec, s[2:3]
	v_mad_u64_u32 v[10:11], s[2:3], v8, s20, 0
	s_load_dwordx2 s[2:3], s[14:15], 0x0
	v_mul_lo_u32 v1, v9, s20
	v_mul_lo_u32 v5, v8, s21
	v_add3_u32 v1, v11, v5, v1
	v_sub_co_u32_e32 v5, vcc, v6, v10
	s_add_u32 s16, s16, 1
	s_nop 0
	v_subb_co_u32_e32 v1, vcc, v7, v1, vcc
	s_addc_u32 s17, s17, 0
	s_waitcnt lgkmcnt(0)
	v_mul_lo_u32 v1, s2, v1
	v_mul_lo_u32 v6, s3, v5
	v_mad_u64_u32 v[2:3], s[2:3], s2, v5, v[2:3]
	s_add_u32 s14, s14, 8
	v_add3_u32 v3, v6, v3, v1
	s_addc_u32 s15, s15, 0
	v_mov_b64_e32 v[6:7], s[6:7]
	s_add_u32 s18, s18, 8
	v_cmp_ge_u64_e32 vcc, s[16:17], v[6:7]
	s_addc_u32 s19, s19, 0
	s_cbranch_vccnz .LBB0_9
; %bb.7:                                ;   in Loop: Header=BB0_2 Depth=1
	v_mov_b64_e32 v[6:7], v[8:9]
	s_branch .LBB0_2
.LBB0_8:
	v_mov_b64_e32 v[8:9], v[6:7]
.LBB0_9:
	s_lshl_b64 s[2:3], s[6:7], 3
	s_add_u32 s2, s12, s2
	s_addc_u32 s3, s13, s3
	s_load_dwordx2 s[6:7], s[2:3], 0x0
	s_load_dwordx2 s[12:13], s[0:1], 0x20
	v_and_b32_e32 v90, 15, v0
	v_or_b32_e32 v94, 16, v90
	v_or_b32_e32 v93, 32, v90
	s_waitcnt lgkmcnt(0)
	v_mul_lo_u32 v1, s6, v9
	v_mul_lo_u32 v4, s7, v8
	v_mad_u64_u32 v[2:3], s[0:1], s6, v8, v[2:3]
	v_add3_u32 v3, v4, v3, v1
	v_cmp_gt_u64_e32 vcc, s[12:13], v[8:9]
	v_cmp_le_u64_e64 s[0:1], s[12:13], v[8:9]
	v_or_b32_e32 v92, 48, v90
	v_or_b32_e32 v91, 64, v90
                                        ; implicit-def: $vgpr30
                                        ; implicit-def: $vgpr18
                                        ; implicit-def: $vgpr14
                                        ; implicit-def: $vgpr28
                                        ; implicit-def: $vgpr20
                                        ; implicit-def: $vgpr26
                                        ; implicit-def: $vgpr16
                                        ; implicit-def: $vgpr24
                                        ; implicit-def: $vgpr22
	s_and_saveexec_b64 s[2:3], s[0:1]
	s_xor_b64 s[0:1], exec, s[2:3]
; %bb.10:
	v_or_b32_e32 v30, 16, v90
	v_or_b32_e32 v18, 0x50, v90
	;; [unrolled: 1-line block ×9, first 2 shown]
; %bb.11:
	s_or_saveexec_b64 s[0:1], s[0:1]
	v_lshl_add_u64 v[12:13], v[2:3], 3, s[10:11]
                                        ; implicit-def: $vgpr48
                                        ; implicit-def: $vgpr52
                                        ; implicit-def: $vgpr62
                                        ; implicit-def: $vgpr32
                                        ; implicit-def: $vgpr10
                                        ; implicit-def: $vgpr6
                                        ; implicit-def: $vgpr4
                                        ; implicit-def: $vgpr72
                                        ; implicit-def: $vgpr74
                                        ; implicit-def: $vgpr68
                                        ; implicit-def: $vgpr54
                                        ; implicit-def: $vgpr34
                                        ; implicit-def: $vgpr40
                                        ; implicit-def: $vgpr46
                                        ; implicit-def: $vgpr44
                                        ; implicit-def: $vgpr38
                                        ; implicit-def: $vgpr2
                                        ; implicit-def: $vgpr50
                                        ; implicit-def: $vgpr42
                                        ; implicit-def: $vgpr56
                                        ; implicit-def: $vgpr0
                                        ; implicit-def: $vgpr58
                                        ; implicit-def: $vgpr8
                                        ; implicit-def: $vgpr36
	s_xor_b64 exec, exec, s[0:1]
	s_cbranch_execz .LBB0_13
; %bb.12:
	v_mad_u64_u32 v[0:1], s[2:3], s8, v90, 0
	v_mov_b32_e32 v2, v1
	v_mad_u64_u32 v[2:3], s[2:3], s9, v90, v[2:3]
	v_mov_b32_e32 v1, v2
	v_lshl_add_u64 v[0:1], v[0:1], 3, v[12:13]
	global_load_dwordx2 v[48:49], v[0:1], off
	v_mad_u64_u32 v[0:1], s[2:3], s8, v93, 0
	v_mov_b32_e32 v2, v1
	v_mad_u64_u32 v[2:3], s[2:3], s9, v93, v[2:3]
	v_mov_b32_e32 v1, v2
	;; [unrolled: 2-line block ×4, first 2 shown]
	v_or_b32_e32 v14, 0x60, v90
	v_lshl_add_u64 v[4:5], v[2:3], 3, v[12:13]
	v_mad_u64_u32 v[2:3], s[2:3], s8, v14, 0
	v_mov_b32_e32 v6, v3
	v_mad_u64_u32 v[6:7], s[2:3], s9, v14, v[6:7]
	v_mov_b32_e32 v3, v6
	v_or_b32_e32 v16, 0x80, v90
	v_lshl_add_u64 v[6:7], v[2:3], 3, v[12:13]
	v_mad_u64_u32 v[2:3], s[2:3], s8, v16, 0
	v_mov_b32_e32 v8, v3
	v_mad_u64_u32 v[8:9], s[2:3], s9, v16, v[8:9]
	v_or_b32_e32 v11, 0xa0, v90
	v_mov_b32_e32 v3, v8
	v_mad_u64_u32 v[8:9], s[2:3], s8, v11, 0
	v_mov_b32_e32 v10, v9
	v_mad_u64_u32 v[10:11], s[2:3], s9, v11, v[10:11]
	v_or_b32_e32 v17, 0xc0, v90
	v_mov_b32_e32 v9, v10
	;; [unrolled: 5-line block ×3, first 2 shown]
	v_mad_u64_u32 v[18:19], s[2:3], s8, v17, 0
	v_mov_b32_e32 v20, v19
	v_mad_u64_u32 v[20:21], s[2:3], s9, v17, v[20:21]
	v_lshl_add_u64 v[0:1], v[0:1], 3, v[12:13]
	v_lshl_add_u64 v[2:3], v[2:3], 3, v[12:13]
	v_mov_b32_e32 v19, v20
	global_load_dwordx2 v[2:3], v[2:3], off
	v_lshl_add_u64 v[8:9], v[8:9], 3, v[12:13]
	v_lshl_add_u64 v[10:11], v[10:11], 3, v[12:13]
	;; [unrolled: 1-line block ×3, first 2 shown]
	global_load_dwordx2 v[44:45], v[6:7], off
	global_load_dwordx2 v[28:29], v[4:5], off
	;; [unrolled: 1-line block ×6, first 2 shown]
	v_mad_u64_u32 v[0:1], s[2:3], s8, v94, 0
	v_mov_b32_e32 v4, v1
	v_or_b32_e32 v17, 0x100, v90
	v_mad_u64_u32 v[4:5], s[2:3], s9, v94, v[4:5]
	v_mad_u64_u32 v[20:21], s[2:3], s8, v17, 0
	v_mov_b32_e32 v1, v4
	v_mad_u64_u32 v[4:5], s[2:3], s8, v92, 0
	v_mov_b32_e32 v22, v21
	v_mov_b32_e32 v6, v5
	v_mad_u64_u32 v[22:23], s[2:3], s9, v17, v[22:23]
	v_mad_u64_u32 v[6:7], s[2:3], s9, v92, v[6:7]
	v_mov_b32_e32 v21, v22
	v_or_b32_e32 v17, 0x120, v90
	v_mov_b32_e32 v5, v6
	v_or_b32_e32 v18, 0x50, v90
	v_lshl_add_u64 v[24:25], v[20:21], 3, v[12:13]
	v_mad_u64_u32 v[20:21], s[2:3], s8, v17, 0
	v_lshl_add_u64 v[10:11], v[4:5], 3, v[12:13]
	v_mad_u64_u32 v[4:5], s[2:3], s8, v18, 0
	v_mov_b32_e32 v22, v21
	v_mov_b32_e32 v6, v5
	v_mad_u64_u32 v[22:23], s[2:3], s9, v17, v[22:23]
	v_mad_u64_u32 v[6:7], s[2:3], s9, v18, v[6:7]
	v_mov_b32_e32 v21, v22
	v_mov_b32_e32 v5, v6
	v_lshl_add_u64 v[26:27], v[20:21], 3, v[12:13]
	v_lshl_add_u64 v[4:5], v[4:5], 3, v[12:13]
	v_or_b32_e32 v20, 0x70, v90
	global_load_dwordx2 v[30:31], v[4:5], off
	v_mad_u64_u32 v[4:5], s[2:3], s8, v20, 0
	v_mov_b32_e32 v6, v5
	v_mad_u64_u32 v[6:7], s[2:3], s9, v20, v[6:7]
	v_mov_b32_e32 v5, v6
	v_or_b32_e32 v22, 0x90, v90
	v_lshl_add_u64 v[32:33], v[4:5], 3, v[12:13]
	v_mad_u64_u32 v[4:5], s[2:3], s8, v22, 0
	v_mov_b32_e32 v6, v5
	v_mad_u64_u32 v[6:7], s[2:3], s9, v22, v[6:7]
	v_mov_b32_e32 v5, v6
	v_or_b32_e32 v7, 0xb0, v90
	v_lshl_add_u64 v[36:37], v[4:5], 3, v[12:13]
	;; [unrolled: 6-line block ×3, first 2 shown]
	v_mad_u64_u32 v[4:5], s[2:3], s8, v7, 0
	v_mov_b32_e32 v6, v5
	v_mad_u64_u32 v[6:7], s[2:3], s9, v7, v[6:7]
	v_mov_b32_e32 v5, v6
	v_lshl_add_u64 v[4:5], v[4:5], 3, v[12:13]
	v_or_b32_e32 v7, 0xf0, v90
	global_load_dwordx2 v[58:59], v[4:5], off
	v_mad_u64_u32 v[4:5], s[2:3], s8, v7, 0
	v_mov_b32_e32 v6, v5
	v_mad_u64_u32 v[6:7], s[2:3], s9, v7, v[6:7]
	v_mov_b32_e32 v5, v6
	v_or_b32_e32 v7, 0x110, v90
	v_lshl_add_u64 v[54:55], v[4:5], 3, v[12:13]
	v_mad_u64_u32 v[4:5], s[2:3], s8, v7, 0
	v_mov_b32_e32 v6, v5
	v_mad_u64_u32 v[6:7], s[2:3], s9, v7, v[6:7]
	v_mov_b32_e32 v5, v6
	v_or_b32_e32 v7, 0x130, v90
	v_lshl_add_u64 v[56:57], v[4:5], 3, v[12:13]
	v_mad_u64_u32 v[4:5], s[2:3], s8, v7, 0
	v_lshl_add_u64 v[0:1], v[0:1], 3, v[12:13]
	v_mov_b32_e32 v6, v5
	global_load_dwordx2 v[42:43], v[24:25], off
	global_load_dwordx2 v[40:41], v[26:27], off
	;; [unrolled: 1-line block ×3, first 2 shown]
	v_mad_u64_u32 v[0:1], s[2:3], s9, v7, v[6:7]
	v_mov_b32_e32 v5, v0
	v_lshl_add_u64 v[24:25], v[4:5], 3, v[12:13]
	global_load_dwordx2 v[68:69], v[10:11], off
	global_load_dwordx2 v[72:73], v[52:53], off
	global_load_dwordx2 v[0:1], v[36:37], off
	global_load_dwordx2 v[74:75], v[32:33], off
	global_load_dwordx2 v[4:5], v[24:25], off
	global_load_dwordx2 v[8:9], v[56:57], off
	global_load_dwordx2 v[6:7], v[54:55], off
	v_mov_b32_e32 v24, v91
	s_waitcnt vmcnt(19)
	v_mov_b32_e32 v54, v49
	s_waitcnt vmcnt(16)
	v_mov_b32_e32 v55, v28
	v_mov_b32_e32 v26, v92
	;; [unrolled: 1-line block ×4, first 2 shown]
	s_waitcnt vmcnt(11)
	v_mov_b32_e32 v11, v30
	v_mov_b32_e32 v30, v94
	;; [unrolled: 1-line block ×3, first 2 shown]
	s_waitcnt vmcnt(9)
	v_mov_b32_e32 v56, v43
	s_waitcnt vmcnt(7)
	v_mov_b32_e32 v10, v63
	;; [unrolled: 2-line block ×3, first 2 shown]
.LBB0_13:
	s_or_b64 exec, exec, s[0:1]
	s_mov_b32 s0, 0x3f737871
	s_mov_b32 s1, 0x3f167918
	v_mov_b32_e32 v33, v1
	v_mov_b32_e32 v37, v59
	v_add_f32_e32 v9, v11, v8
	v_pk_add_f32 v[60:61], v[0:1], v[58:59]
	s_mov_b32 s12, s1
	s_mov_b32 s13, s0
	v_pk_add_f32 v[96:97], v[32:33], v[36:37] neg_lo:[0,1] neg_hi:[0,1]
	v_mov_b32_e32 v53, v3
	v_mov_b32_e32 v57, v51
	v_add_f32_e32 v82, v62, v11
	v_fma_f32 v84, -0.5, v60, v62
	v_fmac_f32_e32 v62, -0.5, v9
	v_pk_mul_f32 v[64:65], v[96:97], s[12:13]
	v_pk_add_f32 v[86:87], v[52:53], v[56:57] neg_lo:[0,1] neg_hi:[0,1]
	v_mov_b32_e32 v53, v56
	v_mov_b32_e32 v78, v3
	;; [unrolled: 1-line block ×3, first 2 shown]
	v_add_f32_e32 v9, v65, v62
	v_sub_f32_e32 v17, v62, v65
	v_pk_add_f32 v[62:63], v[52:53], v[78:79] neg_lo:[0,1] neg_hi:[0,1]
	v_sub_f32_e32 v98, v9, v64
	v_add_f32_e32 v99, v64, v17
	v_mov_b32_e32 v64, v63
	v_mov_b32_e32 v65, v50
	;; [unrolled: 1-line block ×3, first 2 shown]
	v_pk_add_f32 v[100:101], v[62:63], v[64:65]
	v_pk_add_f32 v[76:77], v[8:9], v[64:65] neg_lo:[0,1] neg_hi:[0,1]
	v_pk_add_f32 v[62:63], v[44:45], v[46:47] neg_lo:[0,1] neg_hi:[0,1]
	;; [unrolled: 1-line block ×4, first 2 shown]
	v_pk_add_f32 v[102:103], v[64:65], v[62:63]
	v_pk_add_f32 v[62:63], v[46:47], v[34:35]
	v_pk_mul_f32 v[64:65], v[80:81], s[0:1] op_sel_hi:[1,0]
	v_pk_fma_f32 v[62:63], v[62:63], 0.5, v[38:39] op_sel_hi:[1,0,1] neg_lo:[1,0,0] neg_hi:[1,0,0]
	v_mov_b32_e32 v33, v36
	v_pk_add_f32 v[104:105], v[62:63], v[64:65] op_sel:[0,1] op_sel_hi:[1,0] neg_lo:[0,1] neg_hi:[0,1]
	v_pk_add_f32 v[88:89], v[62:63], v[64:65] op_sel:[0,1] op_sel_hi:[1,0]
	v_mov_b32_e32 v62, v0
	v_mov_b32_e32 v63, v58
	v_mov_b32_e32 v64, v11
	v_mov_b32_e32 v65, v8
	v_pk_add_f32 v[106:107], v[62:63], v[64:65] neg_lo:[0,1] neg_hi:[0,1]
	v_mov_b32_e32 v62, v1
	v_mov_b32_e32 v63, v59
	v_pk_add_f32 v[64:65], v[32:33], v[62:63] neg_lo:[0,1] neg_hi:[0,1]
	v_mov_b32_e32 v67, v58
	v_mov_b32_e32 v66, v65
	;; [unrolled: 1-line block ×3, first 2 shown]
	v_pk_add_f32 v[108:109], v[64:65], v[66:67]
	v_pk_add_f32 v[64:65], v[8:9], v[66:67] neg_lo:[0,1] neg_hi:[0,1]
	s_waitcnt vmcnt(0)
	v_pk_add_f32 v[66:67], v[6:7], v[72:73]
	v_pk_add_f32 v[110:111], v[74:75], v[4:5] neg_lo:[0,1] neg_hi:[0,1]
	v_pk_fma_f32 v[66:67], v[66:67], 0.5, v[68:69] op_sel_hi:[1,0,1] neg_lo:[1,0,0] neg_hi:[1,0,0]
	v_pk_mul_f32 v[70:71], v[110:111], s[0:1] op_sel_hi:[1,0]
	s_mov_b32 s10, s1
	v_pk_add_f32 v[114:115], v[72:73], v[6:7] neg_lo:[0,1] neg_hi:[0,1]
	v_pk_add_f32 v[112:113], v[66:67], v[70:71] op_sel:[0,1] op_sel_hi:[1,0] neg_lo:[0,1] neg_hi:[0,1]
	v_pk_add_f32 v[66:67], v[70:71], v[66:67] op_sel:[1,0] op_sel_hi:[0,1]
	v_pk_mul_f32 v[70:71], v[114:115], s[10:11] op_sel_hi:[1,0]
	v_pk_add_f32 v[116:117], v[4:5], v[6:7] neg_lo:[0,1] neg_hi:[0,1]
	v_pk_add_f32 v[112:113], v[112:113], v[70:71] op_sel:[0,1] op_sel_hi:[1,0] neg_lo:[0,1] neg_hi:[0,1]
	v_pk_add_f32 v[66:67], v[70:71], v[66:67] op_sel:[1,0] op_sel_hi:[0,1]
	v_pk_add_f32 v[70:71], v[74:75], v[72:73] neg_lo:[0,1] neg_hi:[0,1]
	s_mov_b32 s6, 0x3e9e377a
	v_pk_add_f32 v[70:71], v[116:117], v[70:71]
	s_mov_b32 s7, s1
	v_pk_mul_f32 v[116:117], v[70:71], s[6:7] op_sel_hi:[1,0]
	v_pk_mul_f32 v[96:97], v[96:97], s[0:1]
	v_add_f32_e32 v37, v117, v67
	v_mov_b32_e32 v67, v113
	v_pk_fma_f32 v[66:67], v[70:71], s[6:7], v[66:67] op_sel_hi:[1,0,1]
	v_mov_b32_e32 v71, v116
	v_pk_add_f32 v[116:117], v[74:75], v[68:69]
	v_sub_f32_e32 v9, v84, v96
	v_mov_b32_e32 v70, v73
	v_mov_b32_e32 v113, v112
	;; [unrolled: 1-line block ×3, first 2 shown]
	v_sub_f32_e32 v9, v9, v97
	v_pk_add_f32 v[70:71], v[70:71], v[112:113]
	v_pk_add_f32 v[112:113], v[8:9], v[58:59] neg_lo:[0,1] neg_hi:[0,1]
	v_mov_b32_e32 v85, v72
	v_mov_b32_e32 v83, v112
	v_pk_add_f32 v[112:113], v[10:11], v[0:1] op_sel_hi:[1,0] neg_lo:[0,1] neg_hi:[0,1]
	v_pk_add_f32 v[72:73], v[72:73], v[74:75] neg_lo:[0,1] neg_hi:[0,1]
	v_mov_b32_e32 v112, v0
	v_pk_add_f32 v[82:83], v[82:83], v[112:113]
	v_mov_b32_e32 v113, v116
	v_mov_b32_e32 v112, v96
	v_pk_add_f32 v[84:85], v[84:85], v[112:113]
	v_mov_b32_e32 v96, v97
	v_mov_b32_e32 v97, v6
	v_mov_b32_e32 v0, v59
	v_mov_b32_e32 v59, 0x3e9e377a
	v_pk_add_f32 v[74:75], v[74:75], v[4:5]
	v_pk_add_f32 v[84:85], v[96:97], v[84:85]
	;; [unrolled: 1-line block ×3, first 2 shown]
	v_pk_mul_f32 v[82:83], v[82:83], v[58:59]
	v_pk_fma_f32 v[68:69], v[74:75], 0.5, v[68:69] op_sel_hi:[1,0,1] neg_lo:[1,0,0] neg_hi:[1,0,0]
	v_pk_add_f32 v[74:75], v[6:7], v[4:5] neg_lo:[0,1] neg_hi:[0,1]
	v_mov_b32_e32 v97, v83
	v_mov_b32_e32 v82, v83
	;; [unrolled: 1-line block ×3, first 2 shown]
	v_pk_add_f32 v[74:75], v[74:75], v[72:73]
	v_pk_mul_f32 v[72:73], v[114:115], s[0:1] op_sel_hi:[1,0]
	v_pk_add_f32 v[112:113], v[82:83], v[84:85]
	v_pk_add_f32 v[82:83], v[68:69], v[72:73] op_sel:[0,1] op_sel_hi:[1,0] neg_lo:[0,1] neg_hi:[0,1]
	v_pk_add_f32 v[68:69], v[72:73], v[68:69] op_sel:[1,0] op_sel_hi:[0,1]
	v_pk_mul_f32 v[72:73], v[110:111], s[10:11] op_sel_hi:[1,0]
	v_mov_b32_e32 v101, v77
	v_pk_add_f32 v[82:83], v[72:73], v[82:83] op_sel:[1,0] op_sel_hi:[0,1]
	v_pk_add_f32 v[68:69], v[68:69], v[72:73] op_sel:[0,1] op_sel_hi:[1,0] neg_lo:[0,1] neg_hi:[0,1]
	v_pk_fma_f32 v[72:73], v[74:75], s[6:7], v[82:83] op_sel_hi:[1,0,1]
	v_pk_mul_f32 v[82:83], v[100:101], s[6:7]
	v_pk_add_f32 v[100:101], v[46:47], v[34:35] neg_lo:[0,1] neg_hi:[0,1]
	v_add_f32_e32 v4, v106, v107
	v_pk_mul_f32 v[106:107], v[100:101], s[10:11] op_sel_hi:[1,0]
	v_pk_fma_f32 v[110:111], v[74:75], s[6:7], v[68:69] op_sel_hi:[1,0,1]
	v_pk_add_f32 v[104:105], v[104:105], v[106:107] op_sel:[0,1] op_sel_hi:[1,0] neg_lo:[0,1] neg_hi:[0,1]
	v_pk_add_f32 v[68:69], v[88:89], v[106:107] op_sel:[0,1] op_sel_hi:[1,0]
	v_mul_f32_e32 v4, 0x3e9e377a, v4
	v_mov_b32_e32 v69, v105
	v_mov_b32_e32 v109, v65
	s_mov_b32 s2, s0
	s_mov_b32 s3, s6
	v_pk_add_f32 v[98:99], v[4:5], v[98:99] op_sel_hi:[0,1]
	v_pk_fma_f32 v[84:85], v[102:103], s[6:7], v[68:69] op_sel_hi:[1,0,1]
	v_pk_mul_f32 v[68:69], v[108:109], s[6:7]
	v_mov_b32_e32 v108, v110
	v_pk_mul_f32 v[74:75], v[110:111], s[2:3]
	v_mov_b32_e32 v110, v73
	v_mul_u32_u24_e32 v4, 0x140, v15
	v_pk_mul_f32 v[102:103], v[102:103], s[6:7] op_sel_hi:[1,0]
	v_mov_b32_e32 v109, v72
	s_mov_b32 s7, 0xbe9e377a
	v_pk_mul_f32 v[110:111], v[110:111], s[0:1] op_sel_hi:[1,0]
	s_mov_b32 s11, 0x3f4f1bbd
	v_lshlrev_b32_e32 v15, 2, v4
	v_mul_f32_e32 v4, 0x3f167918, v37
	v_pk_fma_f32 v[108:109], v[108:109], s[6:7], v[110:111] neg_lo:[0,0,1] neg_hi:[0,0,1]
	v_pk_add_f32 v[96:97], v[96:97], v[8:9]
	v_fma_f32 v111, v71, s11, -v4
	v_mov_b32_e32 v110, v113
	v_add_u32_e32 v6, 0, v15
	v_mad_i32_i24 v64, v30, 40, v6
	v_pk_add_f32 v[114:115], v[96:97], v[110:111]
	v_pk_add_f32 v[116:117], v[98:99], v[108:109]
	ds_write2_b64 v64, v[114:115], v[116:117] offset1:1
	v_mov_b32_e32 v114, v97
	v_mov_b32_e32 v115, v98
	;; [unrolled: 1-line block ×4, first 2 shown]
	s_mov_b32 s14, 0xbf4f1bbd
	s_mov_b32 s15, s1
	v_pk_add_f32 v[110:111], v[114:115], v[110:111] neg_lo:[0,1] neg_hi:[0,1]
	v_pk_mul_f32 v[114:115], v[66:67], s[14:15]
	v_mov_b32_e32 v9, v96
	v_mov_b32_e32 v4, v115
	v_pk_fma_f32 v[114:115], v[66:67], s[14:15], v[4:5] neg_lo:[0,0,1] neg_hi:[0,0,1]
	v_pk_add_f32 v[96:97], v[8:9], v[112:113] neg_lo:[0,1] neg_hi:[0,1]
	v_pk_add_f32 v[116:117], v[114:115], v[112:113]
	v_add_f32_e32 v4, v55, v42
	v_mov_b32_e32 v117, v97
	ds_write2_b64 v64, v[116:117], v[110:111] offset0:2 offset1:3
	v_pk_add_f32 v[110:111], v[2:3], v[50:51]
	v_add_f32_e32 v96, v48, v55
	v_fma_f32 v58, -0.5, v110, v48
	v_fmac_f32_e32 v48, -0.5, v4
	v_pk_mul_f32 v[116:117], v[86:87], s[12:13]
	v_mov_b32_e32 v98, v99
	v_add_f32_e32 v4, v117, v48
	v_mov_b32_e32 v99, v112
	v_mov_b32_e32 v108, v109
	;; [unrolled: 1-line block ×3, first 2 shown]
	v_pk_mul_f32 v[86:87], v[86:87], s[0:1]
	v_sub_f32_e32 v9, v48, v117
	v_sub_f32_e32 v48, v4, v116
	v_pk_add_f32 v[98:99], v[98:99], v[108:109] neg_lo:[0,1] neg_hi:[0,1]
	v_sub_f32_e32 v4, v58, v86
	ds_write_b64 v64, v[98:99] offset:32
	v_mov_b32_e32 v99, v106
	v_mov_b32_e32 v98, v39
	;; [unrolled: 1-line block ×3, first 2 shown]
	v_sub_f32_e32 v43, v4, v87
	v_pk_add_f32 v[88:89], v[98:99], v[88:89]
	v_pk_add_f32 v[98:99], v[42:43], v[50:51] neg_lo:[0,1] neg_hi:[0,1]
	v_add_f32_e32 v49, v116, v9
	v_mov_b32_e32 v97, v98
	v_pk_add_f32 v[98:99], v[54:55], v[2:3] op_sel_hi:[1,0] neg_lo:[0,1] neg_hi:[0,1]
	v_mov_b32_e32 v116, v2
	v_mov_b32_e32 v98, v2
	v_pk_add_f32 v[96:97], v[96:97], v[98:99]
	v_mov_b32_e32 v2, v51
	v_mov_b32_e32 v51, v59
	;; [unrolled: 1-line block ×3, first 2 shown]
	v_pk_add_f32 v[98:99], v[96:97], v[50:51]
	v_pk_mul_f32 v[50:51], v[96:97], v[50:51]
	v_pk_add_f32 v[96:97], v[38:39], v[44:45]
	v_add_f32_e32 v17, v102, v104
	v_mov_b32_e32 v102, v47
	v_mov_b32_e32 v59, v46
	;; [unrolled: 1-line block ×4, first 2 shown]
	v_pk_add_f32 v[46:47], v[46:47], v[44:45] neg_lo:[0,1] neg_hi:[0,1]
	v_pk_add_f32 v[44:45], v[40:41], v[44:45]
	v_pk_add_f32 v[58:59], v[58:59], v[96:97]
	v_mov_b32_e32 v86, v87
	v_mov_b32_e32 v87, v34
	v_pk_fma_f32 v[38:39], v[44:45], 0.5, v[38:39] op_sel_hi:[1,0,1] neg_lo:[1,0,0] neg_hi:[1,0,0]
	v_pk_add_f32 v[44:45], v[34:35], v[40:41] neg_lo:[0,1] neg_hi:[0,1]
	v_mov_b32_e32 v118, v55
	v_mov_b32_e32 v119, v42
	v_pk_add_f32 v[58:59], v[86:87], v[58:59]
	v_mov_b32_e32 v99, v51
	v_mov_b32_e32 v50, v51
	;; [unrolled: 1-line block ×3, first 2 shown]
	v_pk_add_f32 v[44:45], v[44:45], v[46:47]
	v_pk_mul_f32 v[46:47], v[100:101], s[0:1] op_sel_hi:[1,0]
	v_pk_add_f32 v[116:117], v[116:117], v[118:119] neg_lo:[0,1] neg_hi:[0,1]
	v_pk_add_f32 v[50:51], v[50:51], v[58:59]
	v_pk_add_f32 v[58:59], v[38:39], v[46:47] op_sel:[0,1] op_sel_hi:[1,0] neg_lo:[0,1] neg_hi:[0,1]
	v_pk_add_f32 v[38:39], v[46:47], v[38:39] op_sel:[1,0] op_sel_hi:[0,1]
	v_pk_mul_f32 v[46:47], v[80:81], s[10:11] op_sel_hi:[1,0]
	v_add_f32_e32 v4, v116, v117
	v_pk_add_f32 v[58:59], v[46:47], v[58:59] op_sel:[1,0] op_sel_hi:[0,1]
	v_pk_add_f32 v[38:39], v[38:39], v[46:47] op_sel:[0,1] op_sel_hi:[1,0] neg_lo:[0,1] neg_hi:[0,1]
	v_pk_fma_f32 v[46:47], v[44:45], s[6:7], v[58:59] op_sel_hi:[1,0,1]
	v_pk_fma_f32 v[38:39], v[44:45], s[6:7], v[38:39] op_sel_hi:[1,0,1]
	v_mul_f32_e32 v4, 0x3e9e377a, v4
	v_pk_add_f32 v[88:89], v[102:103], v[88:89]
	v_pk_add_f32 v[44:45], v[4:5], v[48:49] op_sel_hi:[0,1]
	v_mov_b32_e32 v48, v38
	v_pk_mul_f32 v[58:59], v[38:39], s[2:3]
	v_mov_b32_e32 v38, v47
	v_mov_b32_e32 v49, v46
	v_pk_mul_f32 v[38:39], v[38:39], s[0:1] op_sel_hi:[1,0]
	v_mul_f32_e32 v4, 0x3f167918, v89
	v_pk_fma_f32 v[38:39], v[48:49], s[6:7], v[38:39] neg_lo:[0,0,1] neg_hi:[0,0,1]
	v_pk_add_f32 v[48:49], v[98:99], v[42:43]
	v_fma_f32 v81, v17, s11, -v4
	v_mov_b32_e32 v80, v51
	v_mad_u32_u24 v60, v90, 40, v6
	v_pk_add_f32 v[86:87], v[48:49], v[80:81]
	v_pk_add_f32 v[96:97], v[44:45], v[38:39]
	ds_write2_b64 v60, v[86:87], v[96:97] offset1:1
	v_mov_b32_e32 v86, v49
	v_mov_b32_e32 v87, v44
	v_mov_b32_e32 v80, v81
	v_mov_b32_e32 v81, v38
	v_pk_add_f32 v[80:81], v[86:87], v[80:81] neg_lo:[0,1] neg_hi:[0,1]
	v_pk_mul_f32 v[86:87], v[84:85], s[14:15]
	v_mov_b32_e32 v9, v48
	v_mov_b32_e32 v4, v87
	v_pk_fma_f32 v[86:87], v[84:85], s[14:15], v[4:5] neg_lo:[0,0,1] neg_hi:[0,0,1]
	v_pk_add_f32 v[48:49], v[8:9], v[50:51] neg_lo:[0,1] neg_hi:[0,1]
	v_pk_add_f32 v[96:97], v[86:87], v[50:51]
	v_mov_b32_e32 v34, v35
	v_mov_b32_e32 v35, 0x3f4f1bbd
	;; [unrolled: 1-line block ×3, first 2 shown]
	v_pk_add_f32 v[34:35], v[34:35], v[88:89]
	v_pk_mul_f32 v[48:49], v[88:89], s[10:11]
	v_mov_b32_e32 v40, v41
	v_mov_b32_e32 v35, v49
	v_mul_f32_e32 v41, 0x3f167918, v17
	v_add_f32_e32 v9, v52, v56
	ds_write2_b64 v60, v[96:97], v[80:81] offset0:2 offset1:3
	v_pk_add_f32 v[80:81], v[40:41], v[34:35]
	v_mov_b32_e32 v35, v42
	v_mul_f32_e32 v34, 0.5, v9
	v_pk_add_f32 v[40:41], v[78:79], v[52:53] neg_lo:[0,1] neg_hi:[0,1]
	v_pk_add_f32 v[78:79], v[54:55], v[34:35] neg_lo:[0,1] neg_hi:[0,1]
	v_mul_f32_e32 v4, 0.5, v111
	v_pk_mul_f32 v[34:35], v[78:79], s[0:1]
	v_mul_f32_e32 v48, 0x3f737871, v77
	v_mov_b32_e32 v34, v35
	v_fmamk_f32 v35, v77, 0xbf737871, v78
	v_mov_b32_e32 v77, 0x3f167918
	v_mov_b32_e32 v53, v4
	;; [unrolled: 1-line block ×3, first 2 shown]
	v_pk_add_f32 v[42:43], v[54:55], v[52:53]
	v_pk_add_f32 v[52:53], v[54:55], v[52:53] op_sel_hi:[0,1] neg_lo:[0,1] neg_hi:[0,1]
	v_pk_add_f32 v[54:55], v[78:79], v[48:49]
	v_pk_fma_f32 v[48:49], v[78:79], v[48:49], v[34:35]
	v_pk_add_f32 v[34:35], v[54:55], v[34:35] neg_lo:[0,1] neg_hi:[0,1]
	v_add_f32_e32 v4, v40, v41
	v_mov_b32_e32 v35, v49
	v_mul_f32_e32 v4, 0x3e9e377a, v4
	v_pk_add_f32 v[88:89], v[4:5], v[34:35] op_sel_hi:[0,1]
	v_mov_b32_e32 v34, v45
	v_mov_b32_e32 v35, v50
	;; [unrolled: 1-line block ×4, first 2 shown]
	v_pk_add_f32 v[34:35], v[34:35], v[38:39] neg_lo:[0,1] neg_hi:[0,1]
	ds_write_b64 v60, v[34:35] offset:32
	v_mov_b32_e32 v43, v53
	v_mov_b32_e32 v34, v3
	v_mul_f32_e32 v35, 0x3f737871, v79
	v_pk_add_f32 v[34:35], v[42:43], v[34:35]
	v_mov_b32_e32 v3, v83
	v_pk_add_f32 v[2:3], v[34:35], v[2:3]
	v_mov_b32_e32 v57, v82
	v_fmac_f32_e32 v53, 0xbf737871, v79
	v_pk_add_f32 v[2:3], v[2:3], v[56:57]
	v_mul_f32_e32 v78, 0xbf4f1bbd, v85
	v_sub_f32_e32 v4, v53, v83
	v_pk_fma_f32 v[96:97], v[46:47], s[2:3], v[58:59] op_sel:[0,0,1] op_sel_hi:[1,1,0]
	v_pk_fma_f32 v[98:99], v[46:47], s[2:3], v[58:59] op_sel:[0,0,1] op_sel_hi:[1,1,0] neg_lo:[0,0,1] neg_hi:[0,0,1]
	v_fmac_f32_e32 v78, 0x3f167918, v84
	v_mov_b32_e32 v79, v80
	v_add_f32_e32 v52, v82, v4
	v_mov_b32_e32 v53, v2
	v_mov_b32_e32 v99, v97
	s_movk_i32 s6, 0xffdc
	v_lshlrev_b32_e32 v17, 2, v90
	v_pk_add_f32 v[100:101], v[2:3], v[80:81]
	v_mov_b32_e32 v96, v81
	v_mov_b32_e32 v2, v3
	;; [unrolled: 1-line block ×3, first 2 shown]
	v_pk_add_f32 v[80:81], v[52:53], v[78:79]
	v_pk_add_f32 v[82:83], v[52:53], v[78:79] neg_lo:[0,1] neg_hi:[0,1]
	v_pk_add_f32 v[34:35], v[88:89], v[98:99]
	v_add_u32_e32 v49, v6, v17
	v_mad_i32_i24 v55, v90, s6, v60
	v_pk_add_f32 v[2:3], v[2:3], v[96:97] neg_lo:[0,1] neg_hi:[0,1]
	v_mov_b32_e32 v81, v83
	v_mov_b32_e32 v89, v52
	;; [unrolled: 1-line block ×5, first 2 shown]
	v_lshl_add_u32 v54, v18, 2, v6
	v_lshl_add_u32 v51, v14, 2, v6
	;; [unrolled: 1-line block ×8, first 2 shown]
	s_waitcnt lgkmcnt(0)
	; wave barrier
	s_waitcnt lgkmcnt(0)
	v_mad_i32_i24 v56, v30, s6, v64
	v_add_u32_e32 v19, 0x400, v55
	ds_read_b32 v47, v49
	ds_read_b32 v95, v54
	;; [unrolled: 1-line block ×10, first 2 shown]
	ds_read2_b32 v[44:45], v55 offset0:160 offset1:176
	ds_read2_b32 v[40:41], v55 offset0:224 offset1:240
	ds_read2_b32 v[38:39], v19 offset1:16
	ds_read2_b32 v[42:43], v55 offset0:192 offset1:208
	ds_read2_b32 v[34:35], v19 offset0:32 offset1:48
	s_waitcnt lgkmcnt(0)
	; wave barrier
	s_waitcnt lgkmcnt(0)
	ds_write2_b64 v60, v[80:81], v[2:3] offset0:2 offset1:3
	v_pk_add_f32 v[2:3], v[88:89], v[98:99] neg_lo:[0,1] neg_hi:[0,1]
	v_mov_b32_e32 v76, v7
	ds_write_b64 v60, v[2:3] offset:32
	v_pk_add_f32 v[2:3], v[76:77], v[70:71]
	v_pk_mul_f32 v[6:7], v[70:71], s[0:1]
	v_mov_b32_e32 v4, v5
	v_mov_b32_e32 v3, v7
	v_mul_f32_e32 v5, 0x3f4f1bbd, v37
	v_pk_add_f32 v[2:3], v[4:5], v[2:3]
	v_add_f32_e32 v4, v32, v36
	v_mov_b32_e32 v5, v8
	v_mul_f32_e32 v4, 0.5, v4
	v_mul_f32_e32 v9, 0.5, v61
	v_pk_add_f32 v[4:5], v[10:11], v[4:5] neg_lo:[0,1] neg_hi:[0,1]
	v_pk_add_f32 v[6:7], v[62:63], v[32:33] neg_lo:[0,1] neg_hi:[0,1]
	v_mov_b32_e32 v33, v9
	v_mul_f32_e32 v76, 0x3f737871, v65
	v_pk_mul_f32 v[52:53], v[4:5], s[0:1]
	v_pk_add_f32 v[8:9], v[10:11], v[32:33]
	v_pk_add_f32 v[32:33], v[10:11], v[32:33] op_sel_hi:[0,1] neg_lo:[0,1] neg_hi:[0,1]
	v_fmamk_f32 v11, v65, 0xbf737871, v4
	v_mov_b32_e32 v10, v53
	v_pk_add_f32 v[52:53], v[4:5], v[76:77]
	ds_write2_b64 v60, v[100:101], v[86:87] offset1:1
	v_pk_fma_f32 v[60:61], v[4:5], v[76:77], v[10:11]
	v_pk_add_f32 v[10:11], v[52:53], v[10:11] neg_lo:[0,1] neg_hi:[0,1]
	v_add_f32_e32 v4, v6, v7
	v_mov_b32_e32 v11, v61
	v_mul_f32_e32 v4, 0x3e9e377a, v4
	v_mov_b32_e32 v9, v33
	v_mov_b32_e32 v60, v1
	v_mul_f32_e32 v61, 0x3f737871, v5
	v_pk_add_f32 v[6:7], v[4:5], v[10:11] op_sel_hi:[0,1]
	v_pk_fma_f32 v[10:11], v[72:73], s[2:3], v[74:75] op_sel:[0,0,1] op_sel_hi:[1,1,0]
	v_pk_fma_f32 v[52:53], v[72:73], s[2:3], v[74:75] op_sel:[0,0,1] op_sel_hi:[1,1,0] neg_lo:[0,0,1] neg_hi:[0,0,1]
	v_pk_add_f32 v[8:9], v[8:9], v[60:61]
	v_mov_b32_e32 v1, v69
	v_pk_add_f32 v[0:1], v[8:9], v[0:1]
	v_mov_b32_e32 v37, v68
	v_mov_b32_e32 v53, v11
	v_pk_add_f32 v[0:1], v[0:1], v[36:37]
	v_pk_add_f32 v[8:9], v[6:7], v[52:53]
	v_fmac_f32_e32 v33, 0xbf737871, v5
	v_mov_b32_e32 v36, v9
	v_mov_b32_e32 v37, v8
	v_pk_add_f32 v[8:9], v[0:1], v[2:3]
	v_mul_f32_e32 v4, 0xbf4f1bbd, v67
	v_mov_b32_e32 v5, v2
	v_sub_f32_e32 v2, v33, v69
	v_fmac_f32_e32 v4, 0x3f167918, v66
	v_mov_b32_e32 v10, v3
	v_add_f32_e32 v2, v68, v2
	v_mov_b32_e32 v3, v0
	v_mov_b32_e32 v0, v1
	v_mov_b32_e32 v1, v7
	ds_write2_b64 v64, v[8:9], v[36:37] offset1:1
	v_pk_add_f32 v[0:1], v[0:1], v[10:11] neg_lo:[0,1] neg_hi:[0,1]
	v_pk_add_f32 v[8:9], v[2:3], v[4:5]
	v_pk_add_f32 v[10:11], v[2:3], v[4:5] neg_lo:[0,1] neg_hi:[0,1]
	v_mov_b32_e32 v7, v2
	v_mov_b32_e32 v9, v11
	;; [unrolled: 1-line block ×3, first 2 shown]
	ds_write2_b64 v64, v[8:9], v[0:1] offset0:2 offset1:3
	v_pk_add_f32 v[0:1], v[6:7], v[52:53] neg_lo:[0,1] neg_hi:[0,1]
	ds_write_b64 v64, v[0:1] offset:32
	v_add_u32_e32 v0, -10, v90
	v_cmp_gt_u32_e64 s[0:1], 10, v90
	v_mov_b32_e32 v33, 0
	v_mov_b32_e32 v52, 3
	v_cndmask_b32_e64 v76, v0, v90, s[0:1]
	s_movk_i32 s0, 0xcd
	v_mul_i32_i24_e32 v32, 3, v76
	v_mul_lo_u16_sdwa v4, v30, s0 dst_sel:DWORD dst_unused:UNUSED_PAD src0_sel:BYTE_0 src1_sel:DWORD
	v_lshl_add_u64 v[36:37], v[32:33], 3, s[4:5]
	v_lshrrev_b16_e32 v32, 11, v4
	v_mul_lo_u16_e32 v4, 10, v32
	v_sub_u16_e32 v77, v30, v4
	s_waitcnt lgkmcnt(0)
	; wave barrier
	s_waitcnt lgkmcnt(0)
	global_load_dwordx4 v[0:3], v[36:37], off
	v_mul_u32_u24_sdwa v4, v77, v52 dst_sel:DWORD dst_unused:UNUSED_PAD src0_sel:BYTE_0 src1_sel:DWORD
	v_lshlrev_b32_e32 v78, 3, v4
	global_load_dwordx4 v[4:7], v78, s[4:5]
	v_mul_lo_u16_sdwa v8, v28, s0 dst_sel:DWORD dst_unused:UNUSED_PAD src0_sel:BYTE_0 src1_sel:DWORD
	v_lshrrev_b16_e32 v79, 11, v8
	v_mul_lo_u16_e32 v8, 10, v79
	v_mul_lo_u16_sdwa v53, v26, s0 dst_sel:DWORD dst_unused:UNUSED_PAD src0_sel:BYTE_0 src1_sel:DWORD
	v_sub_u16_e32 v80, v28, v8
	v_lshrrev_b16_e32 v82, 11, v53
	v_mul_u32_u24_sdwa v8, v80, v52 dst_sel:DWORD dst_unused:UNUSED_PAD src0_sel:BYTE_0 src1_sel:DWORD
	v_mul_lo_u16_e32 v53, 10, v82
	v_lshlrev_b32_e32 v81, 3, v8
	global_load_dwordx4 v[8:11], v81, s[4:5]
	v_sub_u16_e32 v83, v26, v53
	v_mul_u32_u24_sdwa v53, v83, v52 dst_sel:DWORD dst_unused:UNUSED_PAD src0_sel:BYTE_0 src1_sel:DWORD
	v_lshlrev_b32_e32 v84, 3, v53
	global_load_dwordx4 v[60:63], v84, s[4:5]
	v_mul_lo_u16_sdwa v53, v24, s0 dst_sel:DWORD dst_unused:UNUSED_PAD src0_sel:BYTE_0 src1_sel:DWORD
	v_lshrrev_b16_e32 v85, 11, v53
	v_mul_lo_u16_e32 v53, 10, v85
	v_sub_u16_e32 v86, v24, v53
	v_mul_u32_u24_sdwa v52, v86, v52 dst_sel:DWORD dst_unused:UNUSED_PAD src0_sel:BYTE_0 src1_sel:DWORD
	v_lshlrev_b32_e32 v87, 3, v52
	global_load_dwordx4 v[64:67], v87, s[4:5]
	global_load_dwordx2 v[52:53], v[36:37], off offset:16
	global_load_dwordx2 v[68:69], v78, s[4:5] offset:16
	global_load_dwordx2 v[70:71], v81, s[4:5] offset:16
	;; [unrolled: 1-line block ×4, first 2 shown]
	ds_read_b32 v78, v54
	ds_read2_b32 v[36:37], v55 offset0:160 offset1:176
	ds_read_b32 v81, v58
	ds_read_b32 v84, v27
	;; [unrolled: 1-line block ×7, first 2 shown]
	v_cmp_lt_u32_e64 s[0:1], 9, v90
	s_waitcnt vmcnt(9) lgkmcnt(8)
	v_mul_f32_e32 v98, v78, v1
	v_mul_f32_e32 v1, v95, v1
	v_fmac_f32_e32 v98, v95, v0
	v_fma_f32 v78, v78, v0, -v1
	v_mul_f32_e32 v0, v44, v3
	s_waitcnt lgkmcnt(7)
	v_mul_f32_e32 v95, v36, v3
	v_fma_f32 v36, v36, v2, -v0
	s_waitcnt vmcnt(8)
	v_mul_f32_e32 v0, v45, v7
	v_fmac_f32_e32 v95, v44, v2
	v_mul_f32_e32 v44, v37, v7
	v_fma_f32 v37, v37, v6, -v0
	v_mul_f32_e32 v0, v102, v5
	v_fmac_f32_e32 v44, v45, v6
	s_waitcnt lgkmcnt(2)
	v_fma_f32 v45, v89, v4, -v0
	ds_read2_b32 v[0:1], v55 offset0:192 offset1:208
	v_mul_f32_e32 v6, v89, v5
	s_waitcnt vmcnt(7)
	v_mul_f32_e32 v2, v103, v9
	v_fmac_f32_e32 v6, v102, v4
	v_mul_f32_e32 v4, v87, v9
	v_fma_f32 v87, v87, v8, -v2
	s_waitcnt lgkmcnt(0)
	v_mul_f32_e32 v5, v0, v11
	v_mul_f32_e32 v2, v42, v11
	v_fmac_f32_e32 v5, v42, v10
	v_fma_f32 v10, v0, v10, -v2
	s_waitcnt vmcnt(6)
	v_mul_f32_e32 v0, v43, v63
	ds_read_b32 v2, v59
	v_mul_f32_e32 v7, v1, v63
	v_fma_f32 v11, v1, v62, -v0
	v_mul_f32_e32 v0, v50, v61
	v_fmac_f32_e32 v7, v43, v62
	v_fma_f32 v42, v81, v60, -v0
	ds_read2_b32 v[0:1], v55 offset0:224 offset1:240
	ds_read_b32 v43, v25
	v_fmac_f32_e32 v4, v103, v8
	v_mul_f32_e32 v8, v81, v61
	s_waitcnt vmcnt(5) lgkmcnt(2)
	v_mul_f32_e32 v9, v2, v65
	v_mul_f32_e32 v3, v48, v65
	v_fmac_f32_e32 v8, v50, v60
	v_fmac_f32_e32 v9, v48, v64
	v_fma_f32 v48, v2, v64, -v3
	s_waitcnt lgkmcnt(1)
	v_mul_f32_e32 v50, v0, v67
	v_mul_f32_e32 v2, v40, v67
	v_fmac_f32_e32 v50, v40, v66
	v_fma_f32 v40, v0, v66, -v2
	ds_read2_b32 v[2:3], v19 offset1:16
	s_waitcnt vmcnt(4)
	v_mul_f32_e32 v60, v1, v53
	v_mul_f32_e32 v0, v41, v53
	v_fmac_f32_e32 v60, v41, v52
	v_fma_f32 v41, v1, v52, -v0
	s_waitcnt vmcnt(3)
	v_mul_f32_e32 v0, v38, v69
	s_waitcnt lgkmcnt(0)
	v_mul_f32_e32 v52, v2, v69
	v_fma_f32 v2, v2, v68, -v0
	ds_read2_b32 v[0:1], v19 offset0:32 offset1:48
	v_fmac_f32_e32 v52, v38, v68
	s_waitcnt vmcnt(2)
	v_mul_f32_e32 v38, v3, v71
	v_fmac_f32_e32 v38, v39, v70
	v_mul_f32_e32 v39, v39, v71
	v_fma_f32 v3, v3, v70, -v39
	s_waitcnt vmcnt(1) lgkmcnt(0)
	v_mul_f32_e32 v39, v0, v73
	v_fmac_f32_e32 v39, v34, v72
	v_mul_f32_e32 v34, v34, v73
	v_fma_f32 v0, v0, v72, -v34
	s_waitcnt vmcnt(0)
	v_mul_f32_e32 v34, v1, v75
	v_fmac_f32_e32 v34, v35, v74
	v_mul_f32_e32 v35, v35, v75
	v_fma_f32 v1, v1, v74, -v35
	v_mov_b32_e32 v35, 0xa0
	v_cndmask_b32_e64 v35, 0, v35, s[0:1]
	v_add_u32_e32 v35, 0, v35
	v_lshlrev_b32_e32 v53, 2, v76
	v_add3_u32 v35, v35, v53, v15
	v_sub_f32_e32 v53, v47, v95
	v_sub_f32_e32 v60, v98, v60
	v_fma_f32 v47, v47, 2.0, -v53
	v_sub_f32_e32 v41, v78, v41
	v_fma_f32 v61, v98, 2.0, -v60
	v_sub_f32_e32 v61, v47, v61
	v_add_f32_e32 v62, v53, v41
	v_fma_f32 v47, v47, 2.0, -v61
	v_fma_f32 v53, v53, 2.0, -v62
	s_waitcnt lgkmcnt(0)
	; wave barrier
	ds_write2_b32 v35, v47, v53 offset1:10
	ds_write2_b32 v35, v61, v62 offset0:20 offset1:30
	s_movk_i32 s0, 0xa0
	v_mov_b32_e32 v47, 2
	v_mad_u32_u24 v32, v32, s0, 0
	v_lshlrev_b32_sdwa v53, v47, v77 dst_sel:DWORD dst_unused:UNUSED_PAD src0_sel:DWORD src1_sel:BYTE_0
	v_sub_f32_e32 v44, v46, v44
	v_sub_f32_e32 v52, v6, v52
	v_add3_u32 v32, v32, v53, v15
	v_fma_f32 v46, v46, 2.0, -v44
	v_sub_f32_e32 v53, v45, v2
	v_fma_f32 v2, v6, 2.0, -v52
	v_sub_f32_e32 v2, v46, v2
	v_fma_f32 v6, v46, 2.0, -v2
	v_add_f32_e32 v46, v44, v53
	v_fma_f32 v44, v44, 2.0, -v46
	ds_write2_b32 v32, v6, v44 offset1:10
	ds_write2_b32 v32, v2, v46 offset0:20 offset1:30
	v_mad_u32_u24 v2, v79, s0, 0
	v_lshlrev_b32_sdwa v6, v47, v80 dst_sel:DWORD dst_unused:UNUSED_PAD src0_sel:DWORD src1_sel:BYTE_0
	v_add3_u32 v44, v2, v6, v15
	v_sub_f32_e32 v2, v31, v5
	v_fma_f32 v5, v31, 2.0, -v2
	v_sub_f32_e32 v31, v4, v38
	v_sub_f32_e32 v38, v87, v3
	v_fma_f32 v3, v4, 2.0, -v31
	v_sub_f32_e32 v3, v5, v3
	v_fma_f32 v4, v5, 2.0, -v3
	v_add_f32_e32 v5, v2, v38
	v_fma_f32 v2, v2, 2.0, -v5
	ds_write2_b32 v44, v4, v2 offset1:10
	ds_write2_b32 v44, v3, v5 offset0:20 offset1:30
	v_mad_u32_u24 v2, v82, s0, 0
	v_lshlrev_b32_sdwa v3, v47, v83 dst_sel:DWORD dst_unused:UNUSED_PAD src0_sel:DWORD src1_sel:BYTE_0
	v_add3_u32 v46, v2, v3, v15
	v_sub_f32_e32 v2, v23, v7
	v_fma_f32 v3, v23, 2.0, -v2
	v_sub_f32_e32 v23, v8, v39
	v_sub_f32_e32 v39, v42, v0
	v_fma_f32 v0, v8, 2.0, -v23
	v_sub_f32_e32 v0, v3, v0
	v_add_f32_e32 v4, v2, v39
	v_fma_f32 v3, v3, 2.0, -v0
	v_fma_f32 v2, v2, 2.0, -v4
	ds_write2_b32 v46, v3, v2 offset1:10
	ds_write2_b32 v46, v0, v4 offset0:20 offset1:30
	v_lshlrev_b32_sdwa v0, v47, v86 dst_sel:DWORD dst_unused:UNUSED_PAD src0_sel:DWORD src1_sel:BYTE_0
	v_mad_u32_u24 v2, v85, s0, 0
	v_add3_u32 v47, v2, v0, v15
	v_sub_f32_e32 v0, v21, v50
	v_fma_f32 v2, v21, 2.0, -v0
	v_sub_f32_e32 v21, v9, v34
	v_sub_f32_e32 v34, v48, v1
	v_fma_f32 v1, v9, 2.0, -v21
	v_sub_f32_e32 v1, v2, v1
	v_add_f32_e32 v3, v0, v34
	v_fma_f32 v2, v2, 2.0, -v1
	v_fma_f32 v0, v0, 2.0, -v3
	ds_write2_b32 v47, v2, v0 offset1:10
	ds_write2_b32 v47, v1, v3 offset0:20 offset1:30
	v_sub_f32_e32 v1, v97, v36
	v_fma_f32 v0, v78, 2.0, -v41
	v_fma_f32 v2, v97, 2.0, -v1
	v_sub_f32_e32 v36, v2, v0
	v_sub_f32_e32 v50, v1, v60
	v_fma_f32 v41, v2, 2.0, -v36
	v_fma_f32 v60, v1, 2.0, -v50
	s_waitcnt lgkmcnt(0)
	; wave barrier
	s_waitcnt lgkmcnt(0)
	ds_read_b32 v76, v49
	ds_read_b32 v77, v54
	;; [unrolled: 1-line block ×10, first 2 shown]
	ds_read2_b32 v[8:9], v55 offset0:160 offset1:176
	ds_read2_b32 v[4:5], v55 offset0:224 offset1:240
	ds_read2_b32 v[2:3], v19 offset1:16
	ds_read2_b32 v[6:7], v55 offset0:192 offset1:208
	ds_read2_b32 v[0:1], v19 offset0:32 offset1:48
	s_waitcnt lgkmcnt(0)
	; wave barrier
	s_waitcnt lgkmcnt(0)
	ds_write2_b32 v35, v41, v60 offset1:10
	ds_write2_b32 v35, v36, v50 offset0:20 offset1:30
	v_sub_f32_e32 v36, v96, v37
	v_fma_f32 v35, v45, 2.0, -v53
	v_fma_f32 v37, v96, 2.0, -v36
	v_sub_f32_e32 v35, v37, v35
	v_sub_f32_e32 v41, v36, v52
	v_fma_f32 v37, v37, 2.0, -v35
	v_fma_f32 v36, v36, 2.0, -v41
	v_sub_f32_e32 v10, v88, v10
	ds_write2_b32 v32, v37, v36 offset1:10
	ds_write2_b32 v32, v35, v41 offset0:20 offset1:30
	v_fma_f32 v32, v87, 2.0, -v38
	v_fma_f32 v35, v88, 2.0, -v10
	v_sub_f32_e32 v32, v35, v32
	v_sub_f32_e32 v31, v10, v31
	v_fma_f32 v35, v35, 2.0, -v32
	v_fma_f32 v10, v10, 2.0, -v31
	v_sub_f32_e32 v11, v84, v11
	ds_write2_b32 v44, v35, v10 offset1:10
	ds_write2_b32 v44, v32, v31 offset0:20 offset1:30
	v_fma_f32 v10, v42, 2.0, -v39
	v_fma_f32 v31, v84, 2.0, -v11
	v_sub_f32_e32 v10, v31, v10
	v_sub_f32_e32 v23, v11, v23
	v_fma_f32 v31, v31, 2.0, -v10
	v_fma_f32 v11, v11, 2.0, -v23
	ds_write2_b32 v46, v31, v11 offset1:10
	ds_write2_b32 v46, v10, v23 offset0:20 offset1:30
	v_sub_f32_e32 v11, v43, v40
	v_fma_f32 v10, v48, 2.0, -v34
	v_fma_f32 v23, v43, 2.0, -v11
	v_sub_f32_e32 v10, v23, v10
	v_sub_f32_e32 v21, v11, v21
	v_fma_f32 v23, v23, 2.0, -v10
	v_fma_f32 v11, v11, 2.0, -v21
	ds_write2_b32 v47, v23, v11 offset1:10
	ds_write2_b32 v47, v10, v21 offset0:20 offset1:30
	v_mul_u32_u24_e32 v10, 3, v90
	v_lshlrev_b32_e32 v21, 3, v10
	s_waitcnt lgkmcnt(0)
	; wave barrier
	s_waitcnt lgkmcnt(0)
	global_load_dwordx4 v[34:37], v21, s[4:5] offset:240
	v_mul_i32_i24_e32 v32, 3, v30
	v_lshl_add_u64 v[10:11], v[32:33], 3, s[4:5]
	global_load_dwordx4 v[38:41], v[10:11], off offset:240
	v_add_u32_e32 v23, -8, v90
	v_cmp_gt_u32_e64 s[0:1], 40, v28
	s_nop 1
	v_cndmask_b32_e64 v23, v23, v28, s[0:1]
	v_mul_i32_i24_e32 v32, 3, v23
	v_lshl_add_u64 v[46:47], v[32:33], 3, s[4:5]
	global_load_dwordx4 v[42:45], v[46:47], off offset:240
	global_load_dwordx4 v[60:63], v21, s[4:5] offset:432
	global_load_dwordx4 v[64:67], v21, s[4:5] offset:816
	global_load_dwordx2 v[52:53], v21, s[4:5] offset:256
	global_load_dwordx2 v[68:69], v[10:11], off offset:256
	global_load_dwordx2 v[70:71], v[46:47], off offset:256
	global_load_dwordx2 v[72:73], v21, s[4:5] offset:448
	global_load_dwordx2 v[74:75], v21, s[4:5] offset:832
	ds_read_b32 v21, v54
	ds_read2_b32 v[10:11], v55 offset0:160 offset1:176
	ds_read_b32 v31, v58
	ds_read_b32 v46, v27
	;; [unrolled: 1-line block ×7, first 2 shown]
	v_cmp_lt_u32_e64 s[0:1], 39, v28
	s_waitcnt vmcnt(9) lgkmcnt(8)
	v_mul_f32_e32 v87, v21, v35
	v_mul_f32_e32 v35, v77, v35
	v_fmac_f32_e32 v87, v77, v34
	v_fma_f32 v21, v21, v34, -v35
	s_waitcnt lgkmcnt(7)
	v_mul_f32_e32 v34, v10, v37
	v_fmac_f32_e32 v34, v8, v36
	v_mul_f32_e32 v8, v8, v37
	v_fma_f32 v10, v10, v36, -v8
	s_waitcnt vmcnt(8)
	v_mul_f32_e32 v8, v9, v41
	v_mul_f32_e32 v35, v11, v41
	v_fma_f32 v11, v11, v40, -v8
	v_mul_f32_e32 v8, v79, v39
	v_fmac_f32_e32 v35, v9, v40
	s_waitcnt lgkmcnt(2)
	v_fma_f32 v37, v48, v38, -v8
	ds_read2_b32 v[8:9], v55 offset0:192 offset1:208
	v_mul_f32_e32 v36, v48, v39
	s_waitcnt vmcnt(7)
	v_mul_f32_e32 v39, v81, v43
	v_fmac_f32_e32 v36, v79, v38
	v_mul_f32_e32 v38, v32, v43
	v_fma_f32 v40, v32, v42, -v39
	s_waitcnt lgkmcnt(0)
	v_mul_f32_e32 v32, v8, v45
	v_fmac_f32_e32 v32, v6, v44
	v_mul_f32_e32 v6, v6, v45
	v_fma_f32 v41, v8, v44, -v6
	s_waitcnt vmcnt(6)
	v_mul_f32_e32 v6, v7, v63
	ds_read_b32 v8, v59
	v_mul_f32_e32 v39, v9, v63
	v_fma_f32 v43, v9, v62, -v6
	v_mul_f32_e32 v6, v83, v61
	v_fmac_f32_e32 v38, v81, v42
	v_fmac_f32_e32 v39, v7, v62
	v_mul_f32_e32 v42, v31, v61
	v_fma_f32 v31, v31, v60, -v6
	ds_read2_b32 v[6:7], v55 offset0:224 offset1:240
	ds_read_b32 v45, v25
	s_waitcnt vmcnt(5)
	v_mul_f32_e32 v9, v86, v65
	v_fmac_f32_e32 v42, v83, v60
	s_waitcnt lgkmcnt(2)
	v_mul_f32_e32 v44, v8, v65
	v_fma_f32 v60, v8, v64, -v9
	ds_read2_b32 v[8:9], v19 offset1:16
	s_waitcnt lgkmcnt(2)
	v_mul_f32_e32 v48, v6, v67
	v_fmac_f32_e32 v48, v4, v66
	v_mul_f32_e32 v4, v4, v67
	v_fma_f32 v61, v6, v66, -v4
	s_waitcnt vmcnt(4)
	v_mul_f32_e32 v6, v7, v53
	v_mul_f32_e32 v4, v5, v53
	v_fmac_f32_e32 v6, v5, v52
	v_fma_f32 v7, v7, v52, -v4
	ds_read2_b32 v[4:5], v19 offset0:32 offset1:48
	s_waitcnt vmcnt(3) lgkmcnt(1)
	v_mul_f32_e32 v52, v8, v69
	v_fmac_f32_e32 v52, v2, v68
	v_mul_f32_e32 v2, v2, v69
	v_fma_f32 v2, v8, v68, -v2
	s_waitcnt vmcnt(2)
	v_mul_f32_e32 v8, v9, v71
	v_fmac_f32_e32 v8, v3, v70
	v_mul_f32_e32 v3, v3, v71
	v_fma_f32 v3, v9, v70, -v3
	s_waitcnt vmcnt(1) lgkmcnt(0)
	v_mul_f32_e32 v9, v4, v73
	v_fmac_f32_e32 v9, v0, v72
	v_mul_f32_e32 v0, v0, v73
	v_fma_f32 v0, v4, v72, -v0
	s_waitcnt vmcnt(0)
	v_mul_f32_e32 v4, v5, v75
	v_fmac_f32_e32 v4, v1, v74
	v_mul_f32_e32 v1, v1, v75
	v_fma_f32 v1, v5, v74, -v1
	v_sub_f32_e32 v5, v76, v34
	v_sub_f32_e32 v6, v87, v6
	v_fma_f32 v34, v76, 2.0, -v5
	v_sub_f32_e32 v7, v21, v7
	v_fma_f32 v53, v87, 2.0, -v6
	v_sub_f32_e32 v53, v34, v53
	v_add_f32_e32 v62, v5, v7
	v_fma_f32 v34, v34, 2.0, -v53
	v_fma_f32 v5, v5, 2.0, -v62
	s_waitcnt lgkmcnt(0)
	; wave barrier
	ds_write2_b32 v55, v34, v5 offset1:40
	ds_write2_b32 v55, v53, v62 offset0:80 offset1:120
	v_sub_f32_e32 v5, v78, v35
	v_sub_f32_e32 v62, v36, v52
	v_fma_f32 v34, v78, 2.0, -v5
	v_sub_f32_e32 v63, v37, v2
	v_fma_f32 v2, v36, 2.0, -v62
	v_sub_f32_e32 v2, v34, v2
	v_add_f32_e32 v35, v5, v63
	v_fma_f32 v34, v34, 2.0, -v2
	v_fma_f32 v5, v5, 2.0, -v35
	ds_write2_b32 v56, v34, v5 offset1:40
	ds_write2_b32 v56, v2, v35 offset0:80 offset1:120
	v_mov_b32_e32 v2, 0x280
	v_cndmask_b32_e64 v2, 0, v2, s[0:1]
	v_add_u32_e32 v2, 0, v2
	v_lshlrev_b32_e32 v5, 2, v23
	v_fmac_f32_e32 v44, v86, v64
	v_add3_u32 v5, v2, v5, v15
	v_sub_f32_e32 v2, v80, v32
	v_sub_f32_e32 v64, v38, v8
	v_fma_f32 v23, v80, 2.0, -v2
	v_sub_f32_e32 v65, v40, v3
	v_fma_f32 v3, v38, 2.0, -v64
	;; [unrolled: 2-line block ×3, first 2 shown]
	v_add_f32_e32 v23, v2, v65
	v_fma_f32 v2, v2, 2.0, -v23
	ds_write2_b32 v5, v8, v2 offset1:40
	ds_write2_b32 v5, v3, v23 offset0:80 offset1:120
	v_add3_u32 v15, 0, v17, v15
	v_sub_f32_e32 v2, v82, v39
	v_sub_f32_e32 v17, v42, v9
	;; [unrolled: 1-line block ×4, first 2 shown]
	v_fma_f32 v3, v82, 2.0, -v2
	v_fma_f32 v8, v42, 2.0, -v17
	v_fma_f32 v23, v85, 2.0, -v9
	v_fma_f32 v4, v44, 2.0, -v66
	v_sub_f32_e32 v8, v3, v8
	v_sub_f32_e32 v4, v23, v4
	v_fma_f32 v3, v3, 2.0, -v8
	v_fma_f32 v23, v23, 2.0, -v4
	ds_write2_b32 v15, v3, v23 offset0:168 offset1:184
	v_sub_f32_e32 v23, v31, v0
	v_sub_f32_e32 v1, v60, v1
	v_add_f32_e32 v0, v2, v23
	v_add_f32_e32 v3, v9, v1
	v_fma_f32 v2, v2, 2.0, -v0
	v_fma_f32 v9, v9, 2.0, -v3
	ds_write2_b32 v15, v2, v9 offset0:208 offset1:224
	v_add_u32_e32 v68, 0x400, v15
	v_sub_f32_e32 v2, v50, v10
	ds_write2_b32 v68, v0, v3 offset0:32 offset1:48
	v_fma_f32 v0, v21, 2.0, -v7
	v_fma_f32 v3, v50, 2.0, -v2
	v_add_u32_e32 v67, 0x200, v15
	v_sub_f32_e32 v7, v3, v0
	v_sub_f32_e32 v69, v2, v6
	ds_write2_b32 v67, v8, v4 offset0:120 offset1:136
	v_fma_f32 v21, v3, 2.0, -v7
	v_fma_f32 v70, v2, 2.0, -v69
	s_waitcnt lgkmcnt(0)
	; wave barrier
	s_waitcnt lgkmcnt(0)
	ds_read_b32 v48, v49
	ds_read2_b32 v[52:53], v55 offset0:160 offset1:176
	ds_read2_b32 v[38:39], v55 offset0:192 offset1:208
	;; [unrolled: 1-line block ×3, first 2 shown]
	ds_read_b32 v4, v58
	ds_read_b32 v42, v27
	;; [unrolled: 1-line block ×7, first 2 shown]
	ds_read2_b32 v[8:9], v19 offset1:16
	ds_read2_b32 v[2:3], v19 offset0:32 offset1:48
	ds_read_b32 v36, v25
	ds_read_b32 v0, v59
	v_sub_f32_e32 v11, v84, v11
	s_waitcnt lgkmcnt(0)
	; wave barrier
	s_waitcnt lgkmcnt(0)
	ds_write2_b32 v55, v21, v70 offset1:40
	ds_write2_b32 v55, v7, v69 offset0:80 offset1:120
	v_fma_f32 v7, v37, 2.0, -v63
	v_fma_f32 v21, v84, 2.0, -v11
	v_sub_f32_e32 v7, v21, v7
	v_sub_f32_e32 v37, v11, v62
	v_fma_f32 v21, v21, 2.0, -v7
	v_fma_f32 v11, v11, 2.0, -v37
	ds_write2_b32 v56, v21, v11 offset1:40
	ds_write2_b32 v56, v7, v37 offset0:80 offset1:120
	v_sub_f32_e32 v11, v47, v41
	v_fma_f32 v7, v40, 2.0, -v65
	v_fma_f32 v21, v47, 2.0, -v11
	v_sub_f32_e32 v7, v21, v7
	v_sub_f32_e32 v37, v11, v64
	v_fma_f32 v21, v21, 2.0, -v7
	v_fma_f32 v11, v11, 2.0, -v37
	ds_write2_b32 v5, v21, v11 offset1:40
	ds_write2_b32 v5, v7, v37 offset0:80 offset1:120
	v_sub_f32_e32 v7, v46, v43
	v_sub_f32_e32 v21, v45, v61
	v_fma_f32 v5, v31, 2.0, -v23
	v_fma_f32 v1, v60, 2.0, -v1
	;; [unrolled: 1-line block ×4, first 2 shown]
	v_sub_f32_e32 v5, v11, v5
	v_sub_f32_e32 v1, v23, v1
	v_fma_f32 v11, v11, 2.0, -v5
	v_fma_f32 v23, v23, 2.0, -v1
	ds_write2_b32 v15, v11, v23 offset0:168 offset1:184
	v_sub_f32_e32 v11, v7, v17
	v_sub_f32_e32 v17, v21, v66
	v_fma_f32 v7, v7, 2.0, -v11
	v_fma_f32 v21, v21, 2.0, -v17
	ds_write2_b32 v15, v7, v21 offset0:208 offset1:224
	ds_write2_b32 v67, v5, v1 offset0:120 offset1:136
	;; [unrolled: 1-line block ×3, first 2 shown]
	s_waitcnt lgkmcnt(0)
	; wave barrier
	s_waitcnt lgkmcnt(0)
	s_and_saveexec_b64 s[0:1], vcc
	s_cbranch_execz .LBB0_15
; %bb.14:
	v_lshlrev_b32_e32 v1, 3, v90
	v_mov_b32_e32 v31, v33
	global_load_dwordx2 v[60:61], v1, s[4:5] offset:1200
	v_lshl_add_u64 v[30:31], v[30:31], 3, s[4:5]
	global_load_dwordx2 v[62:63], v[30:31], off offset:1200
	ds_read2_b32 v[30:31], v19 offset0:32 offset1:48
	ds_read2_b32 v[40:41], v19 offset1:16
	ds_read2_b32 v[46:47], v55 offset0:224 offset1:240
	ds_read_b32 v1, v59
	ds_read_b32 v37, v25
	;; [unrolled: 1-line block ×4, first 2 shown]
	ds_read2_b32 v[58:59], v55 offset0:192 offset1:208
	ds_read_b32 v7, v57
	ds_read_b32 v45, v29
	v_mov_b32_e32 v29, v33
	v_lshl_add_u64 v[28:29], v[28:29], 3, s[4:5]
	global_load_dwordx2 v[28:29], v[28:29], off offset:1200
	v_mov_b32_e32 v27, v33
	v_lshl_add_u64 v[26:27], v[26:27], 3, s[4:5]
	v_mov_b32_e32 v23, v33
	v_mov_b32_e32 v17, v33
	;; [unrolled: 1-line block ×6, first 2 shown]
	ds_read_b32 v11, v51
	ds_read_b32 v51, v56
	ds_read2_b32 v[56:57], v55 offset0:160 offset1:176
	ds_read_b32 v33, v54
	ds_read_b32 v49, v49
	global_load_dwordx2 v[26:27], v[26:27], off offset:1200
	v_lshl_add_u64 v[24:25], v[24:25], 3, s[4:5]
	global_load_dwordx2 v[24:25], v[24:25], off offset:1200
	v_mad_u64_u32 v[54:55], s[0:1], s8, v90, 0
	v_or_b32_e32 v67, 0xa0, v90
	v_mad_u64_u32 v[64:65], s[0:1], s8, v94, 0
	v_or_b32_e32 v69, 0xb0, v90
	v_mov_b32_e32 v70, v55
	v_mad_u64_u32 v[72:73], s[0:1], s8, v67, 0
	v_mov_b32_e32 v74, v65
	v_mad_u64_u32 v[76:77], s[0:1], s8, v69, 0
	v_mad_u64_u32 v[70:71], s[0:1], s9, v90, v[70:71]
	v_mov_b32_e32 v78, v73
	v_mad_u64_u32 v[74:75], s[0:1], s9, v94, v[74:75]
	v_mov_b32_e32 v80, v77
	v_mov_b32_e32 v55, v70
	v_mad_u64_u32 v[70:71], s[0:1], s9, v67, v[78:79]
	v_mov_b32_e32 v65, v74
	v_mad_u64_u32 v[74:75], s[0:1], s9, v69, v[80:81]
	v_mov_b32_e32 v73, v70
	v_mov_b32_e32 v77, v74
	s_waitcnt lgkmcnt(2)
	v_mov_b32_e32 v74, v57
	v_mov_b32_e32 v66, v53
	;; [unrolled: 1-line block ×3, first 2 shown]
	v_lshl_add_u64 v[70:71], v[72:73], 3, v[12:13]
	v_lshl_add_u64 v[72:73], v[76:77], 3, v[12:13]
	;; [unrolled: 1-line block ×9, first 2 shown]
	s_waitcnt vmcnt(4)
	v_pk_mul_f32 v[56:57], v[56:57], v[60:61] op_sel_hi:[0,1]
	v_pk_fma_f32 v[76:77], v[52:53], v[60:61], v[56:57] op_sel:[0,0,1] op_sel_hi:[1,1,0]
	v_pk_fma_f32 v[52:53], v[52:53], v[60:61], v[56:57] op_sel:[0,0,1] op_sel_hi:[0,1,0] neg_lo:[1,0,0] neg_hi:[1,0,0]
	s_waitcnt vmcnt(3)
	v_pk_mul_f32 v[56:57], v[74:75], v[62:63] op_sel_hi:[0,1]
	v_mov_b32_e32 v77, v53
	v_pk_fma_f32 v[52:53], v[66:67], v[62:63], v[56:57] op_sel:[0,0,1] op_sel_hi:[1,1,0]
	v_pk_fma_f32 v[56:57], v[68:69], v[62:63], v[56:57] op_sel:[0,0,1] op_sel_hi:[0,1,0] neg_lo:[1,0,0] neg_hi:[1,0,0]
	s_waitcnt lgkmcnt(0)
	v_pk_add_f32 v[60:61], v[48:49], v[76:77] neg_lo:[0,1] neg_hi:[0,1]
	v_mov_b32_e32 v53, v57
	v_pk_fma_f32 v[48:49], v[48:49], 2.0, v[60:61] op_sel_hi:[1,0,1] neg_lo:[0,0,1] neg_hi:[0,0,1]
	v_pk_add_f32 v[52:53], v[50:51], v[52:53] neg_lo:[0,1] neg_hi:[0,1]
	global_store_dwordx2 v[54:55], v[48:49], off
	global_store_dwordx2 v[70:71], v[60:61], off
	v_pk_fma_f32 v[48:49], v[50:51], 2.0, v[52:53] op_sel_hi:[1,0,1] neg_lo:[0,0,1] neg_hi:[0,0,1]
	global_store_dwordx2 v[64:65], v[48:49], off
	global_store_dwordx2 v[72:73], v[52:53], off
	global_load_dwordx2 v[18:19], v[18:19], off offset:1200
	v_mad_u64_u32 v[48:49], s[0:1], s8, v93, 0
	v_mov_b32_e32 v50, v49
	v_mad_u64_u32 v[50:51], s[0:1], s9, v93, v[50:51]
	v_or_b32_e32 v53, 0xc0, v90
	v_mov_b32_e32 v49, v50
	v_mad_u64_u32 v[50:51], s[0:1], s8, v53, 0
	v_mov_b32_e32 v52, v51
	v_mad_u64_u32 v[52:53], s[0:1], s9, v53, v[52:53]
	v_mov_b32_e32 v51, v52
	s_waitcnt vmcnt(7)
	v_pk_mul_f32 v[52:53], v[58:59], v[28:29] op_sel_hi:[0,1]
	v_pk_fma_f32 v[54:55], v[38:39], v[28:29], v[52:53] op_sel:[0,0,1] op_sel_hi:[1,1,0]
	v_pk_fma_f32 v[28:29], v[38:39], v[28:29], v[52:53] op_sel:[0,0,1] op_sel_hi:[0,1,0] neg_lo:[1,0,0] neg_hi:[1,0,0]
	v_mov_b32_e32 v55, v29
	v_pk_add_f32 v[28:29], v[44:45], v[54:55] neg_lo:[0,1] neg_hi:[0,1]
	v_lshl_add_u64 v[48:49], v[48:49], 3, v[12:13]
	v_pk_fma_f32 v[44:45], v[44:45], 2.0, v[28:29] op_sel_hi:[1,0,1] neg_lo:[0,0,1] neg_hi:[0,0,1]
	v_lshl_add_u64 v[50:51], v[50:51], 3, v[12:13]
	global_store_dwordx2 v[48:49], v[44:45], off
	global_store_dwordx2 v[50:51], v[28:29], off
	v_mad_u64_u32 v[28:29], s[0:1], s8, v92, 0
	global_load_dwordx2 v[14:15], v[14:15], off offset:1200
	v_mov_b32_e32 v38, v29
	v_mad_u64_u32 v[44:45], s[0:1], s9, v92, v[38:39]
	v_or_b32_e32 v48, 0xd0, v90
	v_mov_b32_e32 v29, v44
	v_mad_u64_u32 v[44:45], s[0:1], s8, v48, 0
	v_mov_b32_e32 v38, v45
	v_mad_u64_u32 v[48:49], s[0:1], s9, v48, v[38:39]
	v_mov_b32_e32 v38, v59
	v_mov_b32_e32 v45, v48
	s_waitcnt vmcnt(9)
	v_pk_mul_f32 v[48:49], v[38:39], v[26:27] op_sel_hi:[0,1]
	v_mov_b32_e32 v38, v39
	v_pk_fma_f32 v[50:51], v[38:39], v[26:27], v[48:49] op_sel:[0,0,1] op_sel_hi:[1,1,0]
	v_pk_fma_f32 v[26:27], v[38:39], v[26:27], v[48:49] op_sel:[0,0,1] op_sel_hi:[0,1,0] neg_lo:[1,0,0] neg_hi:[1,0,0]
	v_mov_b32_e32 v51, v27
	v_pk_add_f32 v[26:27], v[42:43], v[50:51] neg_lo:[0,1] neg_hi:[0,1]
	v_lshl_add_u64 v[28:29], v[28:29], 3, v[12:13]
	v_pk_fma_f32 v[38:39], v[42:43], 2.0, v[26:27] op_sel_hi:[1,0,1] neg_lo:[0,0,1] neg_hi:[0,0,1]
	v_lshl_add_u64 v[44:45], v[44:45], 3, v[12:13]
	global_store_dwordx2 v[28:29], v[38:39], off
	global_store_dwordx2 v[44:45], v[26:27], off
	v_mad_u64_u32 v[26:27], s[0:1], s8, v91, 0
	v_mov_b32_e32 v28, v27
	global_load_dwordx2 v[20:21], v[20:21], off offset:1200
	v_mad_u64_u32 v[28:29], s[0:1], s9, v91, v[28:29]
	v_or_b32_e32 v39, 0xe0, v90
	v_mov_b32_e32 v27, v28
	v_mad_u64_u32 v[28:29], s[0:1], s8, v39, 0
	v_mov_b32_e32 v38, v29
	v_mad_u64_u32 v[38:39], s[0:1], s9, v39, v[38:39]
	v_mov_b32_e32 v29, v38
	s_waitcnt vmcnt(11)
	v_pk_mul_f32 v[38:39], v[46:47], v[24:25] op_sel_hi:[0,1]
	v_pk_fma_f32 v[42:43], v[34:35], v[24:25], v[38:39] op_sel:[0,0,1] op_sel_hi:[1,1,0]
	v_pk_fma_f32 v[24:25], v[34:35], v[24:25], v[38:39] op_sel:[0,0,1] op_sel_hi:[0,1,0] neg_lo:[1,0,0] neg_hi:[1,0,0]
	v_mov_b32_e32 v43, v25
	v_pk_add_f32 v[24:25], v[36:37], v[42:43] neg_lo:[0,1] neg_hi:[0,1]
	v_lshl_add_u64 v[26:27], v[26:27], 3, v[12:13]
	v_pk_fma_f32 v[36:37], v[36:37], 2.0, v[24:25] op_sel_hi:[1,0,1] neg_lo:[0,0,1] neg_hi:[0,0,1]
	v_lshl_add_u64 v[28:29], v[28:29], 3, v[12:13]
	global_store_dwordx2 v[26:27], v[36:37], off
	global_store_dwordx2 v[28:29], v[24:25], off
	v_or_b32_e32 v27, 0x50, v90
	v_mad_u64_u32 v[24:25], s[0:1], s8, v27, 0
	v_mov_b32_e32 v26, v25
	global_load_dwordx2 v[16:17], v[16:17], off offset:1200
	v_mad_u64_u32 v[26:27], s[0:1], s9, v27, v[26:27]
	v_or_b32_e32 v29, 0xf0, v90
	v_mov_b32_e32 v25, v26
	v_mad_u64_u32 v[26:27], s[0:1], s8, v29, 0
	v_mov_b32_e32 v28, v27
	v_mad_u64_u32 v[28:29], s[0:1], s9, v29, v[28:29]
	v_mov_b32_e32 v27, v28
	v_mov_b32_e32 v28, v47
	s_waitcnt vmcnt(9)
	v_pk_mul_f32 v[28:29], v[28:29], v[18:19] op_sel_hi:[0,1]
	v_mov_b32_e32 v34, v35
	v_pk_fma_f32 v[36:37], v[34:35], v[18:19], v[28:29] op_sel:[0,0,1] op_sel_hi:[1,1,0]
	v_pk_fma_f32 v[18:19], v[34:35], v[18:19], v[28:29] op_sel:[0,0,1] op_sel_hi:[0,1,0] neg_lo:[1,0,0] neg_hi:[1,0,0]
	v_mov_b32_e32 v37, v19
	v_pk_add_f32 v[18:19], v[32:33], v[36:37] neg_lo:[0,1] neg_hi:[0,1]
	v_lshl_add_u64 v[24:25], v[24:25], 3, v[12:13]
	v_pk_fma_f32 v[28:29], v[32:33], 2.0, v[18:19] op_sel_hi:[1,0,1] neg_lo:[0,0,1] neg_hi:[0,0,1]
	v_lshl_add_u64 v[26:27], v[26:27], 3, v[12:13]
	global_store_dwordx2 v[24:25], v[28:29], off
	global_store_dwordx2 v[26:27], v[18:19], off
	global_load_dwordx2 v[22:23], v[22:23], off offset:1200
	v_or_b32_e32 v25, 0x60, v90
	v_mad_u64_u32 v[18:19], s[0:1], s8, v25, 0
	v_mov_b32_e32 v24, v19
	v_mad_u64_u32 v[24:25], s[0:1], s9, v25, v[24:25]
	v_or_b32_e32 v27, 0x100, v90
	v_mov_b32_e32 v19, v24
	v_mad_u64_u32 v[24:25], s[0:1], s8, v27, 0
	v_mov_b32_e32 v26, v25
	v_mad_u64_u32 v[26:27], s[0:1], s9, v27, v[26:27]
	v_mov_b32_e32 v25, v26
	s_waitcnt vmcnt(9)
	v_pk_mul_f32 v[26:27], v[40:41], v[14:15] op_sel_hi:[0,1]
	v_pk_fma_f32 v[28:29], v[8:9], v[14:15], v[26:27] op_sel:[0,0,1] op_sel_hi:[1,1,0]
	v_pk_fma_f32 v[14:15], v[8:9], v[14:15], v[26:27] op_sel:[0,0,1] op_sel_hi:[0,1,0] neg_lo:[1,0,0] neg_hi:[1,0,0]
	v_mov_b32_e32 v29, v15
	v_pk_add_f32 v[14:15], v[10:11], v[28:29] neg_lo:[0,1] neg_hi:[0,1]
	v_lshl_add_u64 v[18:19], v[18:19], 3, v[12:13]
	v_pk_fma_f32 v[10:11], v[10:11], 2.0, v[14:15] op_sel_hi:[1,0,1] neg_lo:[0,0,1] neg_hi:[0,0,1]
	v_lshl_add_u64 v[24:25], v[24:25], 3, v[12:13]
	global_store_dwordx2 v[18:19], v[10:11], off
	global_store_dwordx2 v[24:25], v[14:15], off
	v_or_b32_e32 v14, 0x70, v90
	v_mad_u64_u32 v[10:11], s[0:1], s8, v14, 0
	v_mov_b32_e32 v8, v11
	v_mad_u64_u32 v[14:15], s[0:1], s9, v14, v[8:9]
	v_or_b32_e32 v18, 0x110, v90
	v_mov_b32_e32 v11, v14
	v_mad_u64_u32 v[14:15], s[0:1], s8, v18, 0
	v_mov_b32_e32 v8, v15
	v_mad_u64_u32 v[18:19], s[0:1], s9, v18, v[8:9]
	v_mov_b32_e32 v8, v41
	v_mov_b32_e32 v15, v18
	s_waitcnt vmcnt(8)
	v_pk_mul_f32 v[18:19], v[8:9], v[20:21] op_sel_hi:[0,1]
	v_mov_b32_e32 v8, v9
	v_pk_fma_f32 v[24:25], v[8:9], v[20:21], v[18:19] op_sel:[0,0,1] op_sel_hi:[1,1,0]
	v_pk_fma_f32 v[8:9], v[8:9], v[20:21], v[18:19] op_sel:[0,0,1] op_sel_hi:[0,1,0] neg_lo:[1,0,0] neg_hi:[1,0,0]
	v_mov_b32_e32 v25, v9
	v_pk_add_f32 v[8:9], v[6:7], v[24:25] neg_lo:[0,1] neg_hi:[0,1]
	v_lshl_add_u64 v[10:11], v[10:11], 3, v[12:13]
	v_pk_fma_f32 v[6:7], v[6:7], 2.0, v[8:9] op_sel_hi:[1,0,1] neg_lo:[0,0,1] neg_hi:[0,0,1]
	v_lshl_add_u64 v[14:15], v[14:15], 3, v[12:13]
	global_store_dwordx2 v[10:11], v[6:7], off
	global_store_dwordx2 v[14:15], v[8:9], off
	v_or_b32_e32 v9, 0x80, v90
	v_mad_u64_u32 v[6:7], s[0:1], s8, v9, 0
	v_mov_b32_e32 v8, v7
	v_mad_u64_u32 v[8:9], s[0:1], s9, v9, v[8:9]
	v_or_b32_e32 v11, 0x120, v90
	v_mov_b32_e32 v7, v8
	v_mad_u64_u32 v[8:9], s[0:1], s8, v11, 0
	v_mov_b32_e32 v10, v9
	v_mad_u64_u32 v[10:11], s[0:1], s9, v11, v[10:11]
	v_mov_b32_e32 v9, v10
	s_waitcnt vmcnt(7)
	v_pk_mul_f32 v[10:11], v[30:31], v[16:17] op_sel_hi:[0,1]
	v_pk_fma_f32 v[14:15], v[2:3], v[16:17], v[10:11] op_sel:[0,0,1] op_sel_hi:[1,1,0]
	v_pk_fma_f32 v[10:11], v[2:3], v[16:17], v[10:11] op_sel:[0,0,1] op_sel_hi:[0,1,0] neg_lo:[1,0,0] neg_hi:[1,0,0]
	v_mov_b32_e32 v15, v11
	v_pk_add_f32 v[10:11], v[4:5], v[14:15] neg_lo:[0,1] neg_hi:[0,1]
	v_lshl_add_u64 v[6:7], v[6:7], 3, v[12:13]
	v_pk_fma_f32 v[4:5], v[4:5], 2.0, v[10:11] op_sel_hi:[1,0,1] neg_lo:[0,0,1] neg_hi:[0,0,1]
	v_lshl_add_u64 v[8:9], v[8:9], 3, v[12:13]
	global_store_dwordx2 v[6:7], v[4:5], off
	global_store_dwordx2 v[8:9], v[10:11], off
	v_or_b32_e32 v6, 0x90, v90
	v_mad_u64_u32 v[4:5], s[0:1], s8, v6, 0
	v_mov_b32_e32 v2, v5
	v_mad_u64_u32 v[6:7], s[0:1], s9, v6, v[2:3]
	v_or_b32_e32 v8, 0x130, v90
	v_mov_b32_e32 v5, v6
	v_mad_u64_u32 v[6:7], s[0:1], s8, v8, 0
	v_mov_b32_e32 v2, v7
	v_mad_u64_u32 v[8:9], s[0:1], s9, v8, v[2:3]
	v_mov_b32_e32 v2, v31
	v_mov_b32_e32 v7, v8
	s_waitcnt vmcnt(6)
	v_pk_mul_f32 v[8:9], v[2:3], v[22:23] op_sel_hi:[0,1]
	v_mov_b32_e32 v2, v3
	v_pk_fma_f32 v[10:11], v[2:3], v[22:23], v[8:9] op_sel:[0,0,1] op_sel_hi:[1,1,0]
	v_pk_fma_f32 v[2:3], v[2:3], v[22:23], v[8:9] op_sel:[0,0,1] op_sel_hi:[0,1,0] neg_lo:[1,0,0] neg_hi:[1,0,0]
	v_mov_b32_e32 v11, v3
	v_pk_add_f32 v[2:3], v[0:1], v[10:11] neg_lo:[0,1] neg_hi:[0,1]
	v_lshl_add_u64 v[4:5], v[4:5], 3, v[12:13]
	v_pk_fma_f32 v[0:1], v[0:1], 2.0, v[2:3] op_sel_hi:[1,0,1] neg_lo:[0,0,1] neg_hi:[0,0,1]
	v_lshl_add_u64 v[6:7], v[6:7], 3, v[12:13]
	global_store_dwordx2 v[4:5], v[0:1], off
	global_store_dwordx2 v[6:7], v[2:3], off
.LBB0_15:
	s_endpgm
	.section	.rodata,"a",@progbits
	.p2align	6, 0x0
	.amdhsa_kernel fft_rtc_back_len320_factors_10_4_4_2_wgs_64_tpt_16_halfLds_sp_ip_CI_sbrr_dirReg
		.amdhsa_group_segment_fixed_size 0
		.amdhsa_private_segment_fixed_size 0
		.amdhsa_kernarg_size 88
		.amdhsa_user_sgpr_count 2
		.amdhsa_user_sgpr_dispatch_ptr 0
		.amdhsa_user_sgpr_queue_ptr 0
		.amdhsa_user_sgpr_kernarg_segment_ptr 1
		.amdhsa_user_sgpr_dispatch_id 0
		.amdhsa_user_sgpr_kernarg_preload_length 0
		.amdhsa_user_sgpr_kernarg_preload_offset 0
		.amdhsa_user_sgpr_private_segment_size 0
		.amdhsa_uses_dynamic_stack 0
		.amdhsa_enable_private_segment 0
		.amdhsa_system_sgpr_workgroup_id_x 1
		.amdhsa_system_sgpr_workgroup_id_y 0
		.amdhsa_system_sgpr_workgroup_id_z 0
		.amdhsa_system_sgpr_workgroup_info 0
		.amdhsa_system_vgpr_workitem_id 0
		.amdhsa_next_free_vgpr 120
		.amdhsa_next_free_sgpr 24
		.amdhsa_accum_offset 120
		.amdhsa_reserve_vcc 1
		.amdhsa_float_round_mode_32 0
		.amdhsa_float_round_mode_16_64 0
		.amdhsa_float_denorm_mode_32 3
		.amdhsa_float_denorm_mode_16_64 3
		.amdhsa_dx10_clamp 1
		.amdhsa_ieee_mode 1
		.amdhsa_fp16_overflow 0
		.amdhsa_tg_split 0
		.amdhsa_exception_fp_ieee_invalid_op 0
		.amdhsa_exception_fp_denorm_src 0
		.amdhsa_exception_fp_ieee_div_zero 0
		.amdhsa_exception_fp_ieee_overflow 0
		.amdhsa_exception_fp_ieee_underflow 0
		.amdhsa_exception_fp_ieee_inexact 0
		.amdhsa_exception_int_div_zero 0
	.end_amdhsa_kernel
	.text
.Lfunc_end0:
	.size	fft_rtc_back_len320_factors_10_4_4_2_wgs_64_tpt_16_halfLds_sp_ip_CI_sbrr_dirReg, .Lfunc_end0-fft_rtc_back_len320_factors_10_4_4_2_wgs_64_tpt_16_halfLds_sp_ip_CI_sbrr_dirReg
                                        ; -- End function
	.section	.AMDGPU.csdata,"",@progbits
; Kernel info:
; codeLenInByte = 9852
; NumSgprs: 30
; NumVgprs: 120
; NumAgprs: 0
; TotalNumVgprs: 120
; ScratchSize: 0
; MemoryBound: 0
; FloatMode: 240
; IeeeMode: 1
; LDSByteSize: 0 bytes/workgroup (compile time only)
; SGPRBlocks: 3
; VGPRBlocks: 14
; NumSGPRsForWavesPerEU: 30
; NumVGPRsForWavesPerEU: 120
; AccumOffset: 120
; Occupancy: 4
; WaveLimiterHint : 1
; COMPUTE_PGM_RSRC2:SCRATCH_EN: 0
; COMPUTE_PGM_RSRC2:USER_SGPR: 2
; COMPUTE_PGM_RSRC2:TRAP_HANDLER: 0
; COMPUTE_PGM_RSRC2:TGID_X_EN: 1
; COMPUTE_PGM_RSRC2:TGID_Y_EN: 0
; COMPUTE_PGM_RSRC2:TGID_Z_EN: 0
; COMPUTE_PGM_RSRC2:TIDIG_COMP_CNT: 0
; COMPUTE_PGM_RSRC3_GFX90A:ACCUM_OFFSET: 29
; COMPUTE_PGM_RSRC3_GFX90A:TG_SPLIT: 0
	.text
	.p2alignl 6, 3212836864
	.fill 256, 4, 3212836864
	.type	__hip_cuid_9fd3a46dcb17c26d,@object ; @__hip_cuid_9fd3a46dcb17c26d
	.section	.bss,"aw",@nobits
	.globl	__hip_cuid_9fd3a46dcb17c26d
__hip_cuid_9fd3a46dcb17c26d:
	.byte	0                               ; 0x0
	.size	__hip_cuid_9fd3a46dcb17c26d, 1

	.ident	"AMD clang version 19.0.0git (https://github.com/RadeonOpenCompute/llvm-project roc-6.4.0 25133 c7fe45cf4b819c5991fe208aaa96edf142730f1d)"
	.section	".note.GNU-stack","",@progbits
	.addrsig
	.addrsig_sym __hip_cuid_9fd3a46dcb17c26d
	.amdgpu_metadata
---
amdhsa.kernels:
  - .agpr_count:     0
    .args:
      - .actual_access:  read_only
        .address_space:  global
        .offset:         0
        .size:           8
        .value_kind:     global_buffer
      - .offset:         8
        .size:           8
        .value_kind:     by_value
      - .actual_access:  read_only
        .address_space:  global
        .offset:         16
        .size:           8
        .value_kind:     global_buffer
      - .actual_access:  read_only
        .address_space:  global
        .offset:         24
        .size:           8
        .value_kind:     global_buffer
      - .offset:         32
        .size:           8
        .value_kind:     by_value
      - .actual_access:  read_only
        .address_space:  global
        .offset:         40
        .size:           8
        .value_kind:     global_buffer
      - .actual_access:  read_only
        .address_space:  global
        .offset:         48
        .size:           8
        .value_kind:     global_buffer
      - .offset:         56
        .size:           4
        .value_kind:     by_value
      - .actual_access:  read_only
        .address_space:  global
        .offset:         64
        .size:           8
        .value_kind:     global_buffer
      - .actual_access:  read_only
        .address_space:  global
        .offset:         72
        .size:           8
        .value_kind:     global_buffer
      - .address_space:  global
        .offset:         80
        .size:           8
        .value_kind:     global_buffer
    .group_segment_fixed_size: 0
    .kernarg_segment_align: 8
    .kernarg_segment_size: 88
    .language:       OpenCL C
    .language_version:
      - 2
      - 0
    .max_flat_workgroup_size: 64
    .name:           fft_rtc_back_len320_factors_10_4_4_2_wgs_64_tpt_16_halfLds_sp_ip_CI_sbrr_dirReg
    .private_segment_fixed_size: 0
    .sgpr_count:     30
    .sgpr_spill_count: 0
    .symbol:         fft_rtc_back_len320_factors_10_4_4_2_wgs_64_tpt_16_halfLds_sp_ip_CI_sbrr_dirReg.kd
    .uniform_work_group_size: 1
    .uses_dynamic_stack: false
    .vgpr_count:     120
    .vgpr_spill_count: 0
    .wavefront_size: 64
amdhsa.target:   amdgcn-amd-amdhsa--gfx950
amdhsa.version:
  - 1
  - 2
...

	.end_amdgpu_metadata
